;; amdgpu-corpus repo=ROCm/rocFFT kind=compiled arch=gfx950 opt=O3
	.text
	.amdgcn_target "amdgcn-amd-amdhsa--gfx950"
	.amdhsa_code_object_version 6
	.protected	bluestein_single_back_len935_dim1_half_op_CI_CI ; -- Begin function bluestein_single_back_len935_dim1_half_op_CI_CI
	.globl	bluestein_single_back_len935_dim1_half_op_CI_CI
	.p2align	8
	.type	bluestein_single_back_len935_dim1_half_op_CI_CI,@function
bluestein_single_back_len935_dim1_half_op_CI_CI: ; @bluestein_single_back_len935_dim1_half_op_CI_CI
; %bb.0:
	s_load_dwordx4 s[8:11], s[0:1], 0x28
	v_mul_u32_u24_e32 v1, 0x304, v0
	v_lshrrev_b32_e32 v2, 16, v1
	v_mad_u64_u32 v[22:23], s[2:3], s2, 3, v[2:3]
	v_mov_b32_e32 v21, 0
	v_mov_b32_e32 v23, v21
	s_waitcnt lgkmcnt(0)
	v_cmp_gt_u64_e32 vcc, s[8:9], v[22:23]
	s_and_saveexec_b64 s[2:3], vcc
	s_cbranch_execz .LBB0_23
; %bb.1:
	v_mul_lo_u16_e32 v1, 0x55, v2
	s_mov_b32 s4, 0xaaaaaaab
	v_sub_u16_e32 v20, v0, v1
	v_mul_hi_u32 v0, v22, s4
	s_load_dwordx2 s[12:13], s[0:1], 0x0
	s_load_dwordx2 s[2:3], s[0:1], 0x38
	v_lshrrev_b32_e32 v0, 1, v0
	v_lshl_add_u32 v0, v0, 1, v0
	v_sub_u32_e32 v0, v22, v0
	v_mul_u32_u24_e32 v253, 0x3a7, v0
	v_cmp_gt_u16_e32 vcc, 55, v20
	v_lshlrev_b32_e32 v23, 2, v20
	v_lshlrev_b32_e32 v46, 2, v253
	s_and_saveexec_b64 s[8:9], vcc
	s_cbranch_execz .LBB0_3
; %bb.2:
	s_load_dwordx2 s[4:5], s[0:1], 0x18
	v_mov_b32_e32 v0, s10
	v_mov_b32_e32 v1, s11
	v_lshl_add_u32 v13, v20, 2, v46
	v_add_u32_e32 v14, v46, v23
	s_waitcnt lgkmcnt(0)
	s_load_dwordx4 s[4:7], s[4:5], 0x0
	s_waitcnt lgkmcnt(0)
	v_mad_u64_u32 v[2:3], s[10:11], s6, v22, 0
	v_mad_u64_u32 v[4:5], s[10:11], s4, v20, 0
	v_mov_b32_e32 v6, v3
	v_mov_b32_e32 v8, v5
	v_mad_u64_u32 v[6:7], s[6:7], s7, v22, v[6:7]
	v_mov_b32_e32 v3, v6
	v_mad_u64_u32 v[6:7], s[6:7], s5, v20, v[8:9]
	v_mov_b32_e32 v5, v6
	v_lshl_add_u64 v[0:1], v[2:3], 2, v[0:1]
	v_lshl_add_u64 v[0:1], v[4:5], 2, v[0:1]
	global_load_dword v2, v[0:1], off
	v_mov_b32_e32 v3, 0xdc
	global_load_dword v4, v23, s[12:13]
	v_mad_u64_u32 v[0:1], s[6:7], s4, v3, v[0:1]
	s_mulk_i32 s5, 0xdc
	v_add_u32_e32 v1, s5, v1
	global_load_dword v5, v[0:1], off
	global_load_dword v6, v23, s[12:13] offset:220
	v_mad_u64_u32 v[0:1], s[6:7], s4, v3, v[0:1]
	v_add_u32_e32 v1, s5, v1
	global_load_dword v7, v[0:1], off
	global_load_dword v8, v23, s[12:13] offset:440
	v_mad_u64_u32 v[0:1], s[6:7], s4, v3, v[0:1]
	v_add_u32_e32 v1, s5, v1
	global_load_dword v9, v[0:1], off
	global_load_dword v10, v23, s[12:13] offset:660
	v_mad_u64_u32 v[0:1], s[6:7], s4, v3, v[0:1]
	v_add_u32_e32 v1, s5, v1
	global_load_dword v11, v[0:1], off
	global_load_dword v12, v23, s[12:13] offset:880
	v_mad_u64_u32 v[0:1], s[6:7], s4, v3, v[0:1]
	v_add_u32_e32 v1, s5, v1
	global_load_dword v15, v23, s[12:13] offset:1100
	global_load_dword v16, v23, s[12:13] offset:1320
	;; [unrolled: 1-line block ×3, first 2 shown]
	global_load_dword v18, v[0:1], off
	v_mad_u64_u32 v[0:1], s[6:7], s4, v3, v[0:1]
	v_add_u32_e32 v1, s5, v1
	global_load_dword v19, v[0:1], off
	v_mad_u64_u32 v[0:1], s[6:7], s4, v3, v[0:1]
	v_add_u32_e32 v1, s5, v1
	global_load_dword v24, v[0:1], off
	v_mad_u64_u32 v[0:1], s[6:7], s4, v3, v[0:1]
	v_add_u32_e32 v1, s5, v1
	global_load_dword v25, v[0:1], off
	v_mad_u64_u32 v[0:1], s[6:7], s4, v3, v[0:1]
	v_add_u32_e32 v1, s5, v1
	global_load_dword v26, v[0:1], off
	v_mad_u64_u32 v[0:1], s[6:7], s4, v3, v[0:1]
	v_add_u32_e32 v1, s5, v1
	global_load_dword v27, v[0:1], off
	v_mad_u64_u32 v[0:1], s[6:7], s4, v3, v[0:1]
	v_add_u32_e32 v1, s5, v1
	global_load_dword v28, v[0:1], off
	v_mad_u64_u32 v[0:1], s[6:7], s4, v3, v[0:1]
	v_add_u32_e32 v1, s5, v1
	global_load_dword v29, v23, s[12:13] offset:1760
	global_load_dword v30, v[0:1], off
	v_mad_u64_u32 v[0:1], s[6:7], s4, v3, v[0:1]
	v_add_u32_e32 v1, s5, v1
	s_waitcnt vmcnt(21)
	v_lshrrev_b32_e32 v31, 16, v2
	s_waitcnt vmcnt(20)
	v_mul_f16_sdwa v32, v4, v2 dst_sel:DWORD dst_unused:UNUSED_PAD src0_sel:WORD_1 src1_sel:DWORD
	v_mul_f16_sdwa v33, v4, v31 dst_sel:DWORD dst_unused:UNUSED_PAD src0_sel:WORD_1 src1_sel:DWORD
	v_fma_f16 v31, v4, v31, -v32
	v_fma_f16 v2, v4, v2, v33
	global_load_dword v4, v23, s[12:13] offset:1980
	s_waitcnt vmcnt(20)
	v_lshrrev_b32_e32 v32, 16, v5
	s_waitcnt vmcnt(19)
	v_mul_f16_sdwa v33, v6, v5 dst_sel:DWORD dst_unused:UNUSED_PAD src0_sel:WORD_1 src1_sel:DWORD
	v_pack_b32_f16 v2, v2, v31
	v_mul_f16_sdwa v31, v6, v32 dst_sel:DWORD dst_unused:UNUSED_PAD src0_sel:WORD_1 src1_sel:DWORD
	v_fma_f16 v32, v6, v32, -v33
	global_load_dword v33, v23, s[12:13] offset:2200
	ds_write_b32 v13, v2
	v_fma_f16 v2, v6, v5, v31
	s_waitcnt vmcnt(19)
	v_lshrrev_b32_e32 v5, 16, v7
	s_waitcnt vmcnt(18)
	v_mul_f16_sdwa v6, v8, v7 dst_sel:DWORD dst_unused:UNUSED_PAD src0_sel:WORD_1 src1_sel:DWORD
	v_mul_f16_sdwa v13, v8, v5 dst_sel:DWORD dst_unused:UNUSED_PAD src0_sel:WORD_1 src1_sel:DWORD
	v_fma_f16 v5, v8, v5, -v6
	global_load_dword v6, v23, s[12:13] offset:2420
	v_fma_f16 v7, v8, v7, v13
	v_pack_b32_f16 v2, v2, v32
	v_pack_b32_f16 v5, v7, v5
	ds_write2_b32 v14, v2, v5 offset0:55 offset1:110
	global_load_dword v2, v23, s[12:13] offset:2640
	s_waitcnt vmcnt(19)
	v_lshrrev_b32_e32 v8, 16, v9
	s_waitcnt vmcnt(18)
	v_mul_f16_sdwa v7, v10, v8 dst_sel:DWORD dst_unused:UNUSED_PAD src0_sel:WORD_1 src1_sel:DWORD
	v_fma_f16 v5, v10, v9, v7
	v_mul_f16_sdwa v7, v10, v9 dst_sel:DWORD dst_unused:UNUSED_PAD src0_sel:WORD_1 src1_sel:DWORD
	v_fma_f16 v7, v10, v8, -v7
	global_load_dword v8, v[0:1], off
	global_load_dword v9, v23, s[12:13] offset:2860
	v_mad_u64_u32 v[0:1], s[6:7], s4, v3, v[0:1]
	v_add_u32_e32 v1, s5, v1
	v_pack_b32_f16 v5, v5, v7
	global_load_dword v7, v[0:1], off
	global_load_dword v10, v23, s[12:13] offset:3080
	v_mad_u64_u32 v[0:1], s[6:7], s4, v3, v[0:1]
	v_add_u32_e32 v1, s5, v1
	global_load_dword v32, v[0:1], off
	global_load_dword v34, v23, s[12:13] offset:3300
	v_mad_u64_u32 v[0:1], s[6:7], s4, v3, v[0:1]
	v_add_u32_e32 v1, s5, v1
	global_load_dword v3, v[0:1], off
	global_load_dword v35, v23, s[12:13] offset:3520
	s_waitcnt vmcnt(25)
	v_lshrrev_b32_e32 v13, 16, v11
	s_waitcnt vmcnt(24)
	v_mul_f16_sdwa v31, v12, v13 dst_sel:DWORD dst_unused:UNUSED_PAD src0_sel:WORD_1 src1_sel:DWORD
	v_fma_f16 v31, v12, v11, v31
	v_mul_f16_sdwa v11, v12, v11 dst_sel:DWORD dst_unused:UNUSED_PAD src0_sel:WORD_1 src1_sel:DWORD
	v_fma_f16 v0, v12, v13, -v11
	v_pack_b32_f16 v0, v31, v0
	ds_write2_b32 v14, v5, v0 offset0:165 offset1:220
	s_waitcnt vmcnt(20)
	v_lshrrev_b32_e32 v0, 16, v18
	v_mul_f16_sdwa v1, v15, v0 dst_sel:DWORD dst_unused:UNUSED_PAD src0_sel:WORD_1 src1_sel:DWORD
	v_mul_f16_sdwa v5, v15, v18 dst_sel:DWORD dst_unused:UNUSED_PAD src0_sel:WORD_1 src1_sel:DWORD
	v_fma_f16 v1, v15, v18, v1
	v_fma_f16 v0, v15, v0, -v5
	v_pack_b32_f16 v0, v1, v0
	s_waitcnt vmcnt(19)
	v_lshrrev_b32_e32 v1, 16, v19
	v_mul_f16_sdwa v5, v16, v1 dst_sel:DWORD dst_unused:UNUSED_PAD src0_sel:WORD_1 src1_sel:DWORD
	v_mul_f16_sdwa v11, v16, v19 dst_sel:DWORD dst_unused:UNUSED_PAD src0_sel:WORD_1 src1_sel:DWORD
	v_fma_f16 v5, v16, v19, v5
	v_fma_f16 v1, v16, v1, -v11
	v_pack_b32_f16 v1, v5, v1
	v_add_u32_e32 v5, 0x400, v14
	ds_write2_b32 v5, v0, v1 offset0:19 offset1:74
	s_waitcnt vmcnt(18)
	v_lshrrev_b32_e32 v0, 16, v24
	v_mul_f16_sdwa v1, v17, v0 dst_sel:DWORD dst_unused:UNUSED_PAD src0_sel:WORD_1 src1_sel:DWORD
	v_mul_f16_sdwa v11, v17, v24 dst_sel:DWORD dst_unused:UNUSED_PAD src0_sel:WORD_1 src1_sel:DWORD
	v_fma_f16 v1, v17, v24, v1
	v_fma_f16 v0, v17, v0, -v11
	v_pack_b32_f16 v0, v1, v0
	s_waitcnt vmcnt(17)
	v_lshrrev_b32_e32 v1, 16, v25
	s_waitcnt vmcnt(13)
	v_mul_f16_sdwa v11, v29, v1 dst_sel:DWORD dst_unused:UNUSED_PAD src0_sel:WORD_1 src1_sel:DWORD
	v_mul_f16_sdwa v12, v29, v25 dst_sel:DWORD dst_unused:UNUSED_PAD src0_sel:WORD_1 src1_sel:DWORD
	v_fma_f16 v11, v29, v25, v11
	v_fma_f16 v1, v29, v1, -v12
	v_pack_b32_f16 v1, v11, v1
	ds_write2_b32 v5, v0, v1 offset0:129 offset1:184
	v_lshrrev_b32_e32 v0, 16, v26
	s_waitcnt vmcnt(11)
	v_mul_f16_sdwa v1, v4, v0 dst_sel:DWORD dst_unused:UNUSED_PAD src0_sel:WORD_1 src1_sel:DWORD
	v_mul_f16_sdwa v5, v4, v26 dst_sel:DWORD dst_unused:UNUSED_PAD src0_sel:WORD_1 src1_sel:DWORD
	v_fma_f16 v1, v4, v26, v1
	v_fma_f16 v0, v4, v0, -v5
	v_pack_b32_f16 v0, v1, v0
	v_lshrrev_b32_e32 v1, 16, v27
	s_waitcnt vmcnt(10)
	v_mul_f16_sdwa v4, v33, v1 dst_sel:DWORD dst_unused:UNUSED_PAD src0_sel:WORD_1 src1_sel:DWORD
	v_mul_f16_sdwa v5, v33, v27 dst_sel:DWORD dst_unused:UNUSED_PAD src0_sel:WORD_1 src1_sel:DWORD
	v_fma_f16 v4, v33, v27, v4
	v_fma_f16 v1, v33, v1, -v5
	v_pack_b32_f16 v1, v4, v1
	v_add_u32_e32 v4, 0x600, v14
	ds_write2_b32 v4, v0, v1 offset0:111 offset1:166
	v_lshrrev_b32_e32 v0, 16, v28
	s_waitcnt vmcnt(9)
	v_mul_f16_sdwa v1, v6, v0 dst_sel:DWORD dst_unused:UNUSED_PAD src0_sel:WORD_1 src1_sel:DWORD
	v_mul_f16_sdwa v4, v6, v28 dst_sel:DWORD dst_unused:UNUSED_PAD src0_sel:WORD_1 src1_sel:DWORD
	v_fma_f16 v1, v6, v28, v1
	v_fma_f16 v0, v6, v0, -v4
	v_pack_b32_f16 v0, v1, v0
	v_lshrrev_b32_e32 v1, 16, v30
	s_waitcnt vmcnt(8)
	v_mul_f16_sdwa v4, v2, v1 dst_sel:DWORD dst_unused:UNUSED_PAD src0_sel:WORD_1 src1_sel:DWORD
	v_mul_f16_sdwa v5, v2, v30 dst_sel:DWORD dst_unused:UNUSED_PAD src0_sel:WORD_1 src1_sel:DWORD
	v_fma_f16 v4, v2, v30, v4
	v_fma_f16 v1, v2, v1, -v5
	v_pack_b32_f16 v1, v4, v1
	v_add_u32_e32 v2, 0x800, v14
	ds_write2_b32 v2, v0, v1 offset0:93 offset1:148
	s_waitcnt vmcnt(7)
	v_lshrrev_b32_e32 v0, 16, v8
	s_waitcnt vmcnt(6)
	v_mul_f16_sdwa v1, v9, v0 dst_sel:DWORD dst_unused:UNUSED_PAD src0_sel:WORD_1 src1_sel:DWORD
	v_mul_f16_sdwa v2, v9, v8 dst_sel:DWORD dst_unused:UNUSED_PAD src0_sel:WORD_1 src1_sel:DWORD
	v_fma_f16 v1, v9, v8, v1
	v_fma_f16 v0, v9, v0, -v2
	v_pack_b32_f16 v0, v1, v0
	s_waitcnt vmcnt(5)
	v_lshrrev_b32_e32 v1, 16, v7
	s_waitcnt vmcnt(4)
	v_mul_f16_sdwa v2, v10, v1 dst_sel:DWORD dst_unused:UNUSED_PAD src0_sel:WORD_1 src1_sel:DWORD
	v_mul_f16_sdwa v4, v10, v7 dst_sel:DWORD dst_unused:UNUSED_PAD src0_sel:WORD_1 src1_sel:DWORD
	v_fma_f16 v2, v10, v7, v2
	v_fma_f16 v1, v10, v1, -v4
	v_pack_b32_f16 v1, v2, v1
	v_add_u32_e32 v2, 0xa00, v14
	ds_write2_b32 v2, v0, v1 offset0:75 offset1:130
	s_waitcnt vmcnt(3)
	v_lshrrev_b32_e32 v0, 16, v32
	s_waitcnt vmcnt(2)
	v_mul_f16_sdwa v1, v34, v0 dst_sel:DWORD dst_unused:UNUSED_PAD src0_sel:WORD_1 src1_sel:DWORD
	v_mul_f16_sdwa v2, v34, v32 dst_sel:DWORD dst_unused:UNUSED_PAD src0_sel:WORD_1 src1_sel:DWORD
	v_fma_f16 v1, v34, v32, v1
	v_fma_f16 v0, v34, v0, -v2
	v_pack_b32_f16 v0, v1, v0
	s_waitcnt vmcnt(1)
	v_lshrrev_b32_e32 v1, 16, v3
	s_waitcnt vmcnt(0)
	v_mul_f16_sdwa v2, v35, v1 dst_sel:DWORD dst_unused:UNUSED_PAD src0_sel:WORD_1 src1_sel:DWORD
	v_fma_f16 v2, v35, v3, v2
	v_mul_f16_sdwa v3, v35, v3 dst_sel:DWORD dst_unused:UNUSED_PAD src0_sel:WORD_1 src1_sel:DWORD
	v_fma_f16 v1, v35, v1, -v3
	v_pack_b32_f16 v1, v2, v1
	v_add_u32_e32 v2, 0xc00, v14
	ds_write2_b32 v2, v0, v1 offset0:57 offset1:112
.LBB0_3:
	s_or_b64 exec, exec, s[8:9]
	s_load_dwordx2 s[6:7], s[0:1], 0x20
	s_load_dwordx2 s[4:5], s[0:1], 0x8
	v_mov_b32_e32 v0, 0
	s_waitcnt lgkmcnt(0)
	s_barrier
	s_waitcnt lgkmcnt(0)
                                        ; implicit-def: $vgpr3
                                        ; implicit-def: $vgpr16
                                        ; implicit-def: $vgpr8
                                        ; implicit-def: $vgpr17
                                        ; implicit-def: $vgpr33
                                        ; implicit-def: $vgpr12
                                        ; implicit-def: $vgpr36
                                        ; implicit-def: $vgpr37
                                        ; implicit-def: $vgpr14
                                        ; implicit-def: $vgpr38
                                        ; implicit-def: $vgpr39
                                        ; implicit-def: $vgpr41
                                        ; implicit-def: $vgpr40
                                        ; implicit-def: $vgpr32
                                        ; implicit-def: $vgpr11
                                        ; implicit-def: $vgpr34
                                        ; implicit-def: $vgpr35
                                        ; implicit-def: $vgpr7
                                        ; implicit-def: $vgpr27
                                        ; implicit-def: $vgpr18
                                        ; implicit-def: $vgpr5
                                        ; implicit-def: $vgpr19
                                        ; implicit-def: $vgpr26
                                        ; implicit-def: $vgpr30
	s_and_saveexec_b64 s[0:1], vcc
	s_cbranch_execz .LBB0_5
; %bb.4:
	v_lshlrev_b32_e32 v0, 2, v20
	v_lshl_add_u32 v24, v253, 2, v0
	v_add_u32_e32 v2, 0x200, v24
	ds_read2_b32 v[0:1], v24 offset1:55
	ds_read2_b32 v[4:5], v24 offset0:110 offset1:165
	ds_read2_b32 v[6:7], v2 offset0:92 offset1:147
	v_add_u32_e32 v2, 0x400, v24
	v_add_u32_e32 v12, 0x800, v24
	;; [unrolled: 1-line block ×3, first 2 shown]
	ds_read2_b32 v[10:11], v2 offset0:74 offset1:129
	ds_read2_b32 v[2:3], v2 offset0:184 offset1:239
	;; [unrolled: 1-line block ×5, first 2 shown]
	ds_read_b32 v41, v24 offset:3520
	s_waitcnt lgkmcnt(8)
	v_lshrrev_b32_e32 v30, 16, v1
	s_waitcnt lgkmcnt(7)
	v_lshrrev_b32_e32 v26, 16, v4
	v_lshrrev_b32_e32 v19, 16, v5
	s_waitcnt lgkmcnt(6)
	v_lshrrev_b32_e32 v18, 16, v6
	;; [unrolled: 3-line block ×8, first 2 shown]
.LBB0_5:
	s_or_b64 exec, exec, s[0:1]
	v_sub_f16_e32 v67, v30, v40
	v_add_f16_e32 v48, v41, v1
	s_movk_i32 s14, 0x2de8
	v_mul_f16_e32 v57, 0xbbf7, v67
	v_sub_f16_e32 v71, v26, v39
	v_fma_f16 v24, v48, s14, v57
	s_mov_b32 s11, 0xb461
	v_mul_f16_e32 v59, 0xbbb2, v67
	v_add_f16_e32 v52, v15, v4
	s_mov_b32 s16, 0xbbdd
	v_mul_f16_e32 v60, 0xb1e1, v71
	v_add_f16_e32 v24, v24, v0
	v_fma_f16 v25, v48, s11, v59
	v_fma_f16 v28, v52, s16, v60
	s_mov_b32 s17, 0xbacd
	v_mul_f16_e32 v62, 0x3836, v71
	v_sub_f16_e32 v77, v19, v38
	v_add_f16_e32 v25, v25, v0
	v_add_f16_e32 v24, v28, v24
	v_fma_f16 v28, v52, s17, v62
	v_add_f16_e32 v53, v14, v5
	v_mul_f16_e32 v63, 0x3bb2, v77
	s_movk_i32 s9, 0x39e9
	v_add_f16_e32 v25, v28, v25
	v_fma_f16 v28, v53, s11, v63
	v_mul_f16_e32 v64, 0x3964, v77
	v_sub_f16_e32 v85, v18, v37
	s_movk_i32 s8, 0x3b76
	v_add_f16_e32 v24, v28, v24
	v_fma_f16 v28, v53, s9, v64
	v_add_f16_e32 v54, v13, v6
	v_mul_f16_e32 v65, 0x35c8, v85
	s_movk_i32 s10, 0x3722
	v_add_f16_e32 v25, v28, v25
	v_fma_f16 v28, v54, s8, v65
	v_mul_f16_e32 v69, 0xbb29, v85
	v_sub_f16_e32 v94, v27, v36
	v_add_f16_e32 v24, v28, v24
	v_fma_f16 v28, v54, s10, v69
	v_add_f16_e32 v55, v12, v7
	v_mul_f16_e32 v70, 0xbb29, v94
	v_add_f16_e32 v25, v28, v25
	v_fma_f16 v28, v55, s10, v70
	v_mul_f16_e32 v73, 0xb1e1, v94
	v_sub_f16_e32 v106, v35, v33
	v_add_f16_e32 v24, v28, v24
	v_fma_f16 v28, v55, s16, v73
	v_add_f16_e32 v56, v9, v10
	v_mul_f16_e32 v74, 0xb836, v106
	v_add_f16_e32 v25, v28, v25
	v_fma_f16 v28, v56, s17, v74
	v_mul_f16_e32 v81, 0x3bf7, v106
	v_sub_f16_e32 v116, v34, v17
	s_mov_b32 s15, 0xb8d2
	v_add_f16_e32 v24, v28, v24
	v_fma_f16 v28, v56, s14, v81
	v_add_f16_e32 v58, v8, v11
	v_mul_f16_e32 v82, 0x3a62, v116
	v_add_f16_e32 v25, v28, v25
	v_fma_f16 v28, v58, s15, v82
	v_mul_f16_e32 v90, 0xb5c8, v116
	v_sub_f16_e32 v125, v32, v16
	v_add_f16_e32 v24, v28, v24
	v_fma_f16 v28, v58, s8, v90
	v_add_f16_e32 v61, v3, v2
	v_mul_f16_e32 v91, 0x3964, v125
	v_add_f16_e32 v25, v28, v25
	v_fma_f16 v28, v61, s9, v91
	v_mul_f16_e32 v100, 0xba62, v125
	v_add_f16_e32 v29, v28, v24
	v_fma_f16 v24, v61, s15, v100
	;; [unrolled: 3-line block ×3, first 2 shown]
	v_mul_f16_e32 v76, 0xb964, v71
	v_sub_f16_e32 v148, v1, v41
	v_add_f16_e32 v24, v24, v0
	v_fma_f16 v25, v52, s9, v76
	v_add_f16_e32 v66, v40, v30
	v_mul_f16_e32 v79, 0xb5c8, v148
	v_sub_f16_e32 v151, v4, v15
	v_add_f16_e32 v24, v25, v24
	v_fma_f16 v25, v66, s8, -v79
	v_add_f16_e32 v68, v39, v26
	v_mul_f16_e32 v80, 0xb964, v151
	v_add_f16_sdwa v25, v25, v0 dst_sel:DWORD dst_unused:UNUSED_PAD src0_sel:DWORD src1_sel:WORD_1
	v_fma_f16 v31, v68, s9, -v80
	v_mul_f16_e32 v84, 0xb964, v67
	v_add_f16_e32 v25, v31, v25
	v_fma_f16 v31, v48, s9, v84
	v_mul_f16_e32 v86, 0xbbf7, v71
	v_add_f16_e32 v31, v31, v0
	v_fma_f16 v42, v52, s14, v86
	v_mul_f16_e32 v88, 0xb964, v148
	v_add_f16_e32 v31, v42, v31
	v_fma_f16 v42, v66, s9, -v88
	v_mul_f16_e32 v89, 0xbbf7, v151
	v_add_f16_sdwa v42, v42, v0 dst_sel:DWORD dst_unused:UNUSED_PAD src0_sel:DWORD src1_sel:WORD_1
	v_fma_f16 v43, v68, s14, -v89
	v_mul_f16_e32 v96, 0xbb29, v67
	v_add_f16_e32 v42, v43, v42
	v_fma_f16 v43, v48, s10, v96
	v_mul_f16_e32 v97, 0xba62, v71
	v_add_f16_e32 v43, v43, v0
	v_fma_f16 v44, v52, s15, v97
	v_mul_f16_e32 v102, 0xbb29, v148
	v_add_f16_e32 v43, v44, v43
	v_fma_f16 v44, v66, s10, -v102
	v_mul_f16_e32 v103, 0xba62, v151
	v_add_f16_sdwa v44, v44, v0 dst_sel:DWORD dst_unused:UNUSED_PAD src0_sel:DWORD src1_sel:WORD_1
	v_fma_f16 v45, v68, s15, -v103
	v_mul_f16_e32 v113, 0xbbf7, v148
	v_add_f16_e32 v44, v45, v44
	v_fma_f16 v45, v66, s14, -v113
	v_mul_f16_e32 v114, 0xb1e1, v151
	v_add_f16_sdwa v45, v45, v0 dst_sel:DWORD dst_unused:UNUSED_PAD src0_sel:DWORD src1_sel:WORD_1
	v_fma_f16 v49, v68, s16, -v114
	;; [unrolled: 6-line block ×3, first 2 shown]
	v_mul_f16_e32 v139, 0xba62, v67
	v_add_f16_e32 v49, v50, v49
	v_fma_f16 v50, v48, s15, v139
	v_mul_f16_e32 v140, 0x3bb2, v71
	v_add_f16_e32 v50, v50, v0
	v_fma_f16 v51, v52, s11, v140
	v_mul_f16_e32 v150, 0xba62, v148
	v_add_f16_e32 v50, v51, v50
	v_fma_f16 v51, v66, s15, -v150
	v_mul_f16_e32 v152, 0x3bb2, v151
	v_add_f16_sdwa v51, v51, v0 dst_sel:DWORD dst_unused:UNUSED_PAD src0_sel:DWORD src1_sel:WORD_1
	v_fma_f16 v72, v68, s11, -v152
	v_mul_f16_e32 v87, 0xbb29, v77
	v_add_f16_e32 v51, v72, v51
	v_fma_f16 v72, v53, s10, v87
	v_sub_f16_e32 v162, v5, v14
	v_add_f16_e32 v24, v72, v24
	v_add_f16_e32 v72, v38, v19
	v_mul_f16_e32 v93, 0xbb29, v162
	v_fma_f16 v78, v72, s10, -v93
	v_mul_f16_e32 v98, 0xba62, v77
	v_add_f16_e32 v25, v78, v25
	v_fma_f16 v78, v53, s15, v98
	v_mul_f16_e32 v104, 0xba62, v162
	v_add_f16_e32 v31, v78, v31
	v_fma_f16 v78, v72, s15, -v104
	v_mul_f16_e32 v109, 0x31e1, v77
	v_add_f16_e32 v42, v78, v42
	v_fma_f16 v78, v53, s16, v109
	v_mul_f16_e32 v115, 0x31e1, v162
	v_add_f16_e32 v43, v78, v43
	v_fma_f16 v78, v72, s16, -v115
	v_mul_f16_e32 v124, 0x3bb2, v162
	v_add_f16_e32 v44, v78, v44
	v_fma_f16 v78, v72, s11, -v124
	v_mul_f16_e32 v137, 0x3964, v162
	v_add_f16_e32 v45, v78, v45
	v_fma_f16 v78, v72, s9, -v137
	v_mul_f16_e32 v146, 0xb5c8, v77
	v_add_f16_e32 v49, v78, v49
	v_fma_f16 v78, v53, s8, v146
	v_mul_f16_e32 v158, 0xb5c8, v162
	v_add_f16_e32 v50, v78, v50
	v_fma_f16 v78, v72, s8, -v158
	v_mul_f16_e32 v95, 0xbbf7, v85
	v_add_f16_e32 v51, v78, v51
	v_fma_f16 v78, v54, s14, v95
	v_sub_f16_e32 v167, v6, v13
	v_add_f16_e32 v24, v78, v24
	v_add_f16_e32 v78, v37, v18
	v_mul_f16_e32 v101, 0xbbf7, v167
	v_fma_f16 v83, v78, s14, -v101
	v_mul_f16_e32 v107, 0xb1e1, v85
	v_add_f16_e32 v25, v83, v25
	v_fma_f16 v83, v54, s16, v107
	v_mul_f16_e32 v111, 0xb1e1, v167
	v_add_f16_e32 v31, v83, v31
	v_fma_f16 v83, v78, s16, -v111
	v_mul_f16_e32 v118, 0x3bb2, v85
	v_add_f16_e32 v42, v83, v42
	v_fma_f16 v83, v54, s11, v118
	v_mul_f16_e32 v122, 0x3bb2, v167
	v_add_f16_e32 v43, v83, v43
	v_fma_f16 v83, v78, s11, -v122
	v_mul_f16_e32 v134, 0x35c8, v167
	v_add_f16_e32 v44, v83, v44
	v_fma_f16 v83, v78, s8, -v134
	v_mul_f16_e32 v144, 0xbb29, v167
	v_add_f16_e32 v45, v83, v45
	v_fma_f16 v83, v78, s10, -v144
	v_mul_f16_e32 v156, 0xb836, v85
	v_add_f16_e32 v49, v83, v49
	v_fma_f16 v83, v54, s17, v156
	v_mul_f16_e32 v163, 0xb836, v167
	v_add_f16_e32 v50, v83, v50
	;; [unrolled: 32-line block ×5, first 2 shown]
	v_fma_f16 v49, v99, s16, -v174
	v_mul_f16_e32 v131, 0xb1e1, v125
	v_sub_f16_e32 v178, v2, v3
	v_add_f16_e32 v173, v49, v51
	v_fma_f16 v49, v61, s16, v131
	v_add_f16_e32 v108, v16, v32
	v_mul_f16_e32 v136, 0xb1e1, v178
	v_add_f16_e32 v209, v49, v24
	v_fma_f16 v24, v108, s16, -v136
	v_mul_f16_e32 v145, 0x35c8, v178
	v_mul_f16_e32 v157, 0xb836, v178
	v_add_f16_e32 v47, v24, v25
	v_fma_f16 v24, v108, s8, -v145
	v_mul_f16_e32 v154, 0xb836, v125
	v_fma_f16 v25, v108, s17, -v157
	v_mul_f16_e32 v164, 0x3964, v178
	v_add_f16_e32 v186, v24, v42
	v_fma_f16 v24, v61, s17, v154
	v_add_f16_e32 v42, v25, v44
	v_fma_f16 v25, v108, s9, -v164
	v_mul_f16_e32 v169, 0xba62, v178
	v_add_f16_e32 v24, v24, v43
	v_add_f16_e32 v43, v25, v45
	v_fma_f16 v25, v108, s15, -v169
	v_mul_f16_e32 v176, 0x3b29, v178
	v_add_f16_e32 v44, v25, v147
	v_fma_f16 v25, v108, s10, -v176
	v_mul_f16_e32 v147, 0x35c8, v125
	v_add_f16_e32 v45, v25, v173
	v_fma_f16 v25, v61, s8, v147
	v_mul_f16_e32 v173, 0x3b29, v125
	v_add_f16_e32 v25, v25, v31
	v_fma_f16 v31, v61, s10, v173
	v_add_f16_e32 v31, v31, v179
	s_barrier
	s_and_saveexec_b64 s[0:1], vcc
	s_cbranch_execz .LBB0_7
; %bb.6:
	v_mul_f16_e32 v232, 0xb1e1, v148
	v_fma_f16 v233, v66, s16, v232
	v_mul_f16_e32 v234, 0x35c8, v151
	v_add_f16_sdwa v233, v233, v0 dst_sel:DWORD dst_unused:UNUSED_PAD src0_sel:DWORD src1_sel:WORD_1
	v_fma_f16 v235, v68, s8, v234
	v_add_f16_e32 v233, v235, v233
	v_mul_f16_e32 v235, 0xb836, v162
	v_fma_f16 v236, v72, s17, v235
	v_add_f16_e32 v233, v236, v233
	v_mul_f16_e32 v236, 0x3964, v167
	;; [unrolled: 3-line block ×7, first 2 shown]
	v_fma_f16 v242, v48, s16, -v241
	v_mul_f16_e32 v243, 0x35c8, v71
	v_add_f16_e32 v242, v242, v0
	v_fma_f16 v244, v52, s8, -v243
	v_add_f16_e32 v242, v244, v242
	v_mul_f16_e32 v244, 0xb836, v77
	v_fma_f16 v245, v53, s17, -v244
	v_add_f16_e32 v242, v245, v242
	v_mul_f16_e32 v245, 0x3964, v85
	;; [unrolled: 3-line block ×6, first 2 shown]
	v_fma_f16 v250, v61, s14, -v249
	v_mul_f16_e32 v148, 0xb836, v148
	v_mul_f16_e32 v189, 0xb8d2, v48
	;; [unrolled: 1-line block ×3, first 2 shown]
	v_add_f16_e32 v242, v250, v242
	v_fma_f16 v250, v66, s17, v148
	v_mul_f16_e32 v151, 0x3b29, v151
	v_mul_f16_e32 v201, 0xb461, v52
	;; [unrolled: 1-line block ×3, first 2 shown]
	v_add_f16_sdwa v250, v250, v0 dst_sel:DWORD dst_unused:UNUSED_PAD src0_sel:DWORD src1_sel:WORD_1
	v_fma_f16 v251, v68, s10, v151
	v_mul_f16_e32 v162, 0xbbf7, v162
	v_add_f16_e32 v150, v150, v190
	v_sub_f16_e32 v139, v189, v139
	v_mul_f16_e32 v213, 0x3b76, v53
	v_mul_f16_e32 v214, 0x3b76, v72
	v_add_f16_e32 v250, v251, v250
	v_fma_f16 v251, v72, s14, v162
	v_mul_f16_e32 v167, 0x3a62, v167
	v_add_f16_e32 v152, v152, v202
	v_add_f16_sdwa v150, v150, v0 dst_sel:DWORD dst_unused:UNUSED_PAD src0_sel:DWORD src1_sel:WORD_1
	v_sub_f16_e32 v140, v201, v140
	v_add_f16_e32 v139, v139, v0
	v_mul_f16_e32 v225, 0xbacd, v54
	v_add_f16_e32 v250, v251, v250
	v_fma_f16 v251, v78, s15, v167
	v_mul_f16_e32 v171, 0xb5c8, v171
	v_add_f16_e32 v150, v152, v150
	v_add_f16_e32 v158, v158, v214
	;; [unrolled: 1-line block ×3, first 2 shown]
	v_sub_f16_e32 v146, v213, v146
	v_mul_f16_e32 v185, 0x2de8, v48
	v_add_f16_e32 v250, v251, v250
	v_fma_f16 v251, v83, s8, v171
	v_mul_f16_e32 v175, 0xb1e1, v175
	v_add_f16_e32 v150, v158, v150
	v_mul_f16_e32 v158, 0x2de8, v55
	v_add_f16_e32 v139, v146, v139
	v_sub_f16_e32 v156, v225, v156
	v_mul_f16_e32 v187, 0xb461, v48
	v_mul_f16_e32 v188, 0xb461, v66
	;; [unrolled: 1-line block ×3, first 2 shown]
	v_add_f16_e32 v250, v251, v250
	v_fma_f16 v251, v92, s16, v175
	v_mul_f16_e32 v177, 0x3964, v177
	v_mul_f16_e32 v146, 0x39e9, v56
	v_add_f16_e32 v139, v156, v139
	v_sub_f16_e32 v158, v158, v161
	v_sub_f16_e32 v57, v185, v57
	v_mul_f16_e32 v199, 0xbacd, v52
	v_mul_f16_e32 v200, 0xbacd, v68
	;; [unrolled: 1-line block ×3, first 2 shown]
	v_add_f16_e32 v250, v251, v250
	v_fma_f16 v251, v99, s9, v177
	v_mul_f16_e32 v178, 0xbbb2, v178
	v_add_f16_e32 v139, v158, v139
	v_sub_f16_e32 v146, v146, v166
	v_add_f16_e32 v128, v128, v188
	v_sub_f16_e32 v59, v187, v59
	;; [unrolled: 2-line block ×3, first 2 shown]
	v_mul_f16_e32 v211, 0x39e9, v53
	v_mul_f16_e32 v212, 0x39e9, v72
	;; [unrolled: 1-line block ×3, first 2 shown]
	v_add_f16_e32 v250, v251, v250
	v_fma_f16 v251, v108, s11, v178
	v_mul_f16_e32 v67, 0xb836, v67
	v_add_f16_e32 v139, v146, v139
	v_mul_f16_e32 v146, 0xbbdd, v58
	v_add_f16_e32 v129, v129, v200
	v_add_f16_sdwa v128, v128, v0 dst_sel:DWORD dst_unused:UNUSED_PAD src0_sel:DWORD src1_sel:WORD_1
	v_add_f16_e32 v59, v59, v0
	v_sub_f16_e32 v62, v199, v62
	v_add_f16_e32 v57, v60, v57
	v_sub_f16_e32 v60, v51, v63
	v_mul_f16_e32 v223, 0x3722, v54
	v_mul_f16_e32 v224, 0x3722, v78
	;; [unrolled: 1-line block ×3, first 2 shown]
	v_add_f16_e32 v250, v251, v250
	v_fma_f16 v251, v48, s17, -v67
	v_mul_f16_e32 v71, 0x3b29, v71
	v_mul_f16_e32 v190, 0x3722, v55
	v_sub_f16_e32 v146, v146, v170
	v_add_f16_e32 v128, v129, v128
	v_add_f16_e32 v137, v137, v212
	;; [unrolled: 1-line block ×3, first 2 shown]
	v_sub_f16_e32 v62, v211, v64
	v_add_f16_e32 v57, v60, v57
	v_sub_f16_e32 v60, v221, v65
	v_add_f16_e32 v251, v251, v0
	v_fma_f16 v252, v52, s10, -v71
	v_mul_f16_e32 v77, 0xbbf7, v77
	v_mul_f16_e32 v152, 0xbbdd, v55
	;; [unrolled: 1-line block ×3, first 2 shown]
	v_add_f16_e32 v163, v163, v226
	v_mul_f16_e32 v226, 0x2de8, v83
	v_mul_f16_e32 v189, 0xbacd, v56
	v_add_f16_e32 v139, v146, v139
	v_mul_f16_e32 v146, 0x3722, v61
	v_add_f16_e32 v128, v137, v128
	v_add_f16_e32 v144, v144, v224
	;; [unrolled: 1-line block ×3, first 2 shown]
	v_sub_f16_e32 v62, v223, v69
	v_add_f16_e32 v57, v60, v57
	v_sub_f16_e32 v60, v190, v70
	v_add_f16_e32 v251, v252, v251
	v_fma_f16 v252, v53, s14, -v77
	v_mul_f16_e32 v85, 0x3a62, v85
	v_add_f16_e32 v150, v163, v150
	v_add_f16_e32 v168, v168, v226
	v_mul_f16_e32 v140, 0x2de8, v56
	v_mul_f16_e32 v213, 0x2de8, v92
	v_sub_f16_e32 v146, v146, v173
	v_mul_f16_e32 v173, 0xb8d2, v58
	v_add_f16_e32 v128, v144, v128
	v_add_f16_e32 v155, v155, v214
	;; [unrolled: 1-line block ×3, first 2 shown]
	v_sub_f16_e32 v62, v152, v73
	v_add_f16_e32 v57, v60, v57
	v_sub_f16_e32 v60, v189, v74
	v_add_f16_e32 v251, v252, v251
	v_fma_f16 v252, v54, s15, -v85
	v_mul_f16_e32 v94, 0xb5c8, v94
	v_add_f16_e32 v150, v168, v150
	v_mul_f16_e32 v168, 0x39e9, v92
	v_mul_f16_e32 v188, 0x3b76, v58
	v_add_f16_e32 v128, v155, v128
	v_mul_f16_e32 v155, 0x39e9, v61
	v_add_f16_e32 v160, v160, v213
	v_add_f16_e32 v59, v62, v59
	v_sub_f16_e32 v62, v140, v81
	v_add_f16_e32 v57, v60, v57
	v_sub_f16_e32 v60, v173, v82
	v_mul_f16_e32 v184, 0x3722, v66
	v_add_f16_e32 v251, v252, v251
	v_fma_f16 v252, v55, s8, -v94
	v_mul_f16_e32 v106, 0xb1e1, v106
	v_add_f16_e32 v168, v172, v168
	v_add_f16_e32 v128, v160, v128
	v_mul_f16_e32 v160, 0xb8d2, v61
	v_add_f16_e32 v59, v62, v59
	v_sub_f16_e32 v62, v188, v90
	v_add_f16_e32 v57, v60, v57
	v_sub_f16_e32 v60, v155, v91
	v_mul_f16_e32 v49, 0x2de8, v66
	v_mul_f16_e32 v196, 0xb8d2, v68
	v_add_f16_e32 v251, v252, v251
	v_fma_f16 v252, v56, s16, -v106
	v_mul_f16_e32 v116, 0x3964, v116
	v_add_f16_e32 v150, v168, v150
	v_mul_f16_e32 v168, 0xbbdd, v99
	v_add_f16_e32 v59, v62, v59
	v_sub_f16_e32 v62, v160, v100
	v_add_f16_e32 v57, v60, v57
	v_add_f16_e32 v60, v102, v184
	v_mul_f16_e32 v198, 0xbbdd, v68
	v_mul_f16_e32 v208, 0xbbdd, v72
	v_add_f16_e32 v251, v252, v251
	v_fma_f16 v252, v58, s9, -v116
	v_mul_f16_e32 v125, 0xbbb2, v125
	v_add_f16_e32 v168, v174, v168
	v_add_f16_e32 v59, v62, v59
	;; [unrolled: 1-line block ×3, first 2 shown]
	v_add_f16_sdwa v60, v60, v0 dst_sel:DWORD dst_unused:UNUSED_PAD src0_sel:DWORD src1_sel:WORD_1
	v_add_f16_e32 v63, v103, v196
	v_mul_f16_e32 v210, 0xb461, v72
	v_mul_f16_e32 v220, 0xb461, v78
	v_add_f16_e32 v251, v252, v251
	v_fma_f16 v252, v61, s11, -v125
	v_add_f16_e32 v150, v168, v150
	v_mul_f16_e32 v168, 0x3722, v108
	v_add_f16_sdwa v62, v62, v0 dst_sel:DWORD dst_unused:UNUSED_PAD src0_sel:DWORD src1_sel:WORD_1
	v_add_f16_e32 v64, v114, v198
	v_add_f16_e32 v60, v63, v60
	v_add_f16_e32 v63, v115, v208
	v_mul_f16_e32 v222, 0x3b76, v78
	v_add_f16_e32 v251, v252, v251
	v_mul_f16_e32 v252, 0x39e9, v83
	v_add_f16_e32 v168, v176, v168
	v_add_f16_e32 v62, v64, v62
	v_add_f16_e32 v64, v124, v210
	v_add_f16_e32 v60, v63, v60
	v_add_f16_e32 v63, v122, v220
	v_mul_f16_e32 v202, 0x3722, v83
	v_add_f16_e32 v150, v168, v150
	v_mul_f16_e32 v168, 0x3b76, v92
	v_add_f16_e32 v62, v64, v62
	v_add_f16_e32 v64, v134, v222
	;; [unrolled: 1-line block ×4, first 2 shown]
	v_mul_f16_e32 v201, 0xbacd, v92
	v_mul_f16_e32 v170, 0x2de8, v99
	v_add_f16_e32 v62, v64, v62
	v_add_f16_e32 v64, v142, v202
	;; [unrolled: 1-line block ×5, first 2 shown]
	v_mul_f16_e32 v146, 0xb8d2, v99
	v_mul_f16_e32 v214, 0xbacd, v108
	v_add_f16_e32 v62, v64, v62
	v_add_f16_e32 v64, v153, v201
	;; [unrolled: 1-line block ×4, first 2 shown]
	v_mul_f16_e32 v183, 0x3722, v48
	v_mul_f16_e32 v213, 0x39e9, v108
	v_add_f16_e32 v62, v64, v62
	v_add_f16_e32 v64, v159, v146
	;; [unrolled: 1-line block ×4, first 2 shown]
	v_mul_f16_e32 v195, 0xb8d2, v52
	v_add_f16_e32 v62, v64, v62
	v_add_f16_e32 v64, v164, v213
	;; [unrolled: 1-line block ×3, first 2 shown]
	v_sub_f16_e32 v63, v183, v96
	v_add_f16_e32 v1, v1, v0
	v_mul_f16_e32 v207, 0xbbdd, v53
	v_add_f16_e32 v62, v64, v62
	v_add_f16_e32 v63, v63, v0
	v_sub_f16_e32 v64, v195, v97
	v_add_f16_e32 v1, v4, v1
	v_mul_f16_e32 v219, 0xb461, v54
	v_add_f16_e32 v63, v64, v63
	v_sub_f16_e32 v64, v207, v109
	v_add_f16_e32 v1, v5, v1
	v_mul_f16_e32 v231, 0x39e9, v55
	;; [unrolled: 4-line block ×7, first 2 shown]
	v_add_f16_e32 v63, v64, v63
	v_add_f16_e32 v64, v88, v182
	;; [unrolled: 1-line block ×3, first 2 shown]
	v_fma_f16 v3, v66, s16, -v232
	v_mul_f16_e32 v206, 0xb8d2, v72
	v_add_f16_sdwa v64, v64, v0 dst_sel:DWORD dst_unused:UNUSED_PAD src0_sel:DWORD src1_sel:WORD_1
	v_add_f16_e32 v65, v89, v194
	v_add_f16_sdwa v3, v3, v0 dst_sel:DWORD dst_unused:UNUSED_PAD src0_sel:DWORD src1_sel:WORD_1
	v_fma_f16 v4, v68, s8, -v234
	v_mul_f16_e32 v218, 0xbbdd, v78
	v_add_f16_e32 v64, v65, v64
	v_add_f16_e32 v65, v104, v206
	v_add_f16_e32 v3, v4, v3
	v_fma_f16 v4, v72, s17, -v235
	v_mul_f16_e32 v230, 0xbacd, v83
	v_add_f16_e32 v64, v65, v64
	v_add_f16_e32 v65, v111, v218
	v_add_f16_e32 v3, v4, v3
	;; [unrolled: 5-line block ×6, first 2 shown]
	v_fma_f16 v4, v108, s14, -v240
	v_mul_f16_e32 v193, 0x2de8, v52
	v_add_f16_e32 v64, v65, v64
	v_sub_f16_e32 v65, v181, v84
	v_add_f16_e32 v3, v4, v3
	v_fma_f16 v4, v48, s16, v241
	v_mul_f16_e32 v205, 0xb8d2, v53
	v_add_f16_e32 v65, v65, v0
	v_sub_f16_e32 v69, v193, v86
	v_add_f16_e32 v4, v4, v0
	v_fma_f16 v5, v52, s8, v243
	;; [unrolled: 5-line block ×8, first 2 shown]
	v_mul_f16_e32 v192, 0x39e9, v68
	v_add_f16_e32 v65, v69, v65
	v_add_f16_e32 v69, v79, v180
	;; [unrolled: 1-line block ×3, first 2 shown]
	v_fma_f16 v5, v66, s17, -v148
	v_mul_f16_e32 v204, 0x3722, v72
	v_add_f16_sdwa v69, v69, v0 dst_sel:DWORD dst_unused:UNUSED_PAD src0_sel:DWORD src1_sel:WORD_1
	v_add_f16_e32 v70, v80, v192
	v_add_f16_sdwa v2, v30, v0 dst_sel:DWORD dst_unused:UNUSED_PAD src0_sel:DWORD src1_sel:WORD_1
	v_add_f16_sdwa v5, v5, v0 dst_sel:DWORD dst_unused:UNUSED_PAD src0_sel:DWORD src1_sel:WORD_1
	v_fma_f16 v6, v68, s10, -v151
	v_mul_f16_e32 v216, 0x2de8, v78
	v_add_f16_e32 v69, v70, v69
	v_add_f16_e32 v70, v93, v204
	v_add_f16_e32 v2, v26, v2
	v_add_f16_e32 v5, v6, v5
	v_fma_f16 v6, v72, s14, -v162
	v_mul_f16_e32 v228, 0xb461, v83
	v_add_f16_e32 v69, v70, v69
	v_add_f16_e32 v70, v101, v216
	v_add_f16_e32 v2, v19, v2
	v_add_f16_e32 v5, v6, v5
	;; [unrolled: 6-line block ×6, first 2 shown]
	v_fma_f16 v6, v108, s11, -v178
	v_mul_f16_e32 v191, 0x39e9, v52
	v_add_f16_e32 v69, v70, v69
	v_sub_f16_e32 v70, v179, v75
	v_add_f16_e32 v2, v32, v2
	v_add_f16_e32 v5, v6, v5
	v_fma_f16 v6, v48, s17, v67
	v_mul_f16_e32 v203, 0x3722, v53
	v_add_f16_e32 v70, v70, v0
	v_sub_f16_e32 v73, v191, v76
	v_add_f16_e32 v2, v16, v2
	v_add_f16_e32 v0, v6, v0
	v_fma_f16 v6, v52, s10, v71
	v_mul_f16_e32 v215, 0x2de8, v54
	v_add_f16_e32 v70, v73, v70
	v_sub_f16_e32 v73, v203, v87
	v_add_f16_e32 v1, v8, v1
	v_add_f16_e32 v2, v17, v2
	v_add_f16_e32 v0, v6, v0
	v_fma_f16 v6, v53, s14, v77
	v_mul_f16_e32 v227, 0xb461, v55
	v_add_f16_e32 v70, v73, v70
	v_sub_f16_e32 v73, v215, v95
	v_add_f16_e32 v1, v9, v1
	;; [unrolled: 7-line block ×6, first 2 shown]
	v_add_f16_e32 v2, v39, v2
	v_add_f16_e32 v0, v6, v0
	v_fma_f16 v6, v61, s11, v125
	v_add_f16_e32 v165, v165, v200
	v_mul_f16_e32 v200, 0xb8d2, v108
	v_add_f16_e32 v70, v73, v70
	v_add_f16_e32 v1, v41, v1
	;; [unrolled: 1-line block ×4, first 2 shown]
	v_mul_lo_u16_e32 v6, 17, v20
	v_add_f16_e32 v128, v165, v128
	v_add_f16_e32 v165, v169, v200
	v_add_lshl_u32 v6, v253, v6, 2
	v_pack_b32_f16 v7, v70, v69
	v_pack_b32_f16 v1, v1, v2
	v_add_f16_e32 v128, v165, v128
	ds_write2_b32 v6, v1, v7 offset1:1
	v_pack_b32_f16 v1, v63, v60
	v_pack_b32_f16 v2, v65, v64
	ds_write2_b32 v6, v2, v1 offset0:2 offset1:3
	v_pack_b32_f16 v1, v59, v128
	v_pack_b32_f16 v2, v57, v62
	ds_write2_b32 v6, v2, v1 offset0:4 offset1:5
	v_pack_b32_f16 v1, v139, v150
	v_pack_b32_f16 v2, v251, v250
	ds_write2_b32 v6, v1, v2 offset0:6 offset1:7
	v_pack_b32_f16 v1, v4, v3
	v_pack_b32_f16 v2, v242, v233
	s_mov_b32 s8, 0x5040100
	ds_write2_b32 v6, v2, v1 offset0:8 offset1:9
	v_pack_b32_f16 v0, v0, v5
	v_perm_b32 v1, v45, v31, s8
	ds_write2_b32 v6, v0, v1 offset0:10 offset1:11
	v_perm_b32 v0, v43, v29, s8
	v_perm_b32 v1, v44, v28, s8
	ds_write2_b32 v6, v1, v0 offset0:12 offset1:13
	v_perm_b32 v0, v186, v25, s8
	v_perm_b32 v1, v42, v24, s8
	ds_write2_b32 v6, v1, v0 offset0:14 offset1:15
	v_perm_b32 v0, v47, v209, s8
	ds_write_b32 v6, v0 offset:64
.LBB0_7:
	s_or_b64 exec, exec, s[0:1]
	s_movk_i32 s0, 0xf1
	v_mul_lo_u16_sdwa v0, v20, s0 dst_sel:DWORD dst_unused:UNUSED_PAD src0_sel:BYTE_0 src1_sel:DWORD
	v_lshrrev_b16_e32 v1, 12, v0
	v_mul_lo_u16_e32 v0, 17, v1
	v_sub_u16_e32 v32, v20, v0
	v_mov_b32_e32 v0, 10
	v_mul_u32_u24_sdwa v0, v32, v0 dst_sel:DWORD dst_unused:UNUSED_PAD src0_sel:BYTE_0 src1_sel:DWORD
	v_lshlrev_b32_e32 v0, 2, v0
	s_load_dwordx4 s[8:11], s[6:7], 0x0
	s_waitcnt lgkmcnt(0)
	s_barrier
	global_load_dwordx4 v[4:7], v0, s[4:5]
	global_load_dwordx4 v[8:11], v0, s[4:5] offset:16
	global_load_dwordx2 v[26:27], v0, s[4:5] offset:32
	v_add_lshl_u32 v48, v253, v20, 2
	ds_read2_b32 v[2:3], v48 offset1:85
	ds_read2_b32 v[12:13], v48 offset0:170 offset1:255
	v_add_u32_e32 v16, 0x600, v48
	v_add_u32_e32 v34, 0x400, v48
	;; [unrolled: 1-line block ×3, first 2 shown]
	ds_read_b32 v30, v48 offset:3400
	ds_read2_b32 v[14:15], v34 offset0:84 offset1:169
	ds_read2_b32 v[16:17], v16 offset0:126 offset1:211
	;; [unrolled: 1-line block ×3, first 2 shown]
	s_waitcnt lgkmcnt(5)
	v_lshrrev_b32_e32 v33, 16, v3
	s_waitcnt lgkmcnt(4)
	v_lshrrev_b32_e32 v35, 16, v12
	v_lshrrev_b32_e32 v36, 16, v13
	s_waitcnt lgkmcnt(2)
	v_lshrrev_b32_e32 v38, 16, v14
	;; [unrolled: 3-line block ×4, first 2 shown]
	v_lshrrev_b32_e32 v37, 16, v30
	v_lshrrev_b32_e32 v53, 16, v19
	s_movk_i32 s6, 0x3abb
	s_movk_i32 s0, 0x36a6
	s_mov_b32 s1, 0xb08e
	s_mov_b32 s7, 0xb93d
	;; [unrolled: 1-line block ×3, first 2 shown]
	v_mul_u32_u24_e32 v1, 0xbb, v1
	v_add_u32_sdwa v1, v1, v32 dst_sel:DWORD dst_unused:UNUSED_PAD src0_sel:DWORD src1_sel:BYTE_0
	s_barrier
	s_waitcnt vmcnt(2)
	v_mul_f16_sdwa v54, v33, v4 dst_sel:DWORD dst_unused:UNUSED_PAD src0_sel:DWORD src1_sel:WORD_1
	v_mul_f16_sdwa v55, v3, v4 dst_sel:DWORD dst_unused:UNUSED_PAD src0_sel:DWORD src1_sel:WORD_1
	;; [unrolled: 1-line block ×3, first 2 shown]
	v_fma_f16 v3, v3, v4, -v54
	v_mul_f16_sdwa v57, v12, v5 dst_sel:DWORD dst_unused:UNUSED_PAD src0_sel:DWORD src1_sel:WORD_1
	v_mul_f16_sdwa v58, v36, v6 dst_sel:DWORD dst_unused:UNUSED_PAD src0_sel:DWORD src1_sel:WORD_1
	v_fma_f16 v33, v33, v4, v55
	v_fma_f16 v12, v12, v5, -v56
	v_add_f16_e32 v54, v2, v3
	v_mul_f16_sdwa v59, v13, v6 dst_sel:DWORD dst_unused:UNUSED_PAD src0_sel:DWORD src1_sel:WORD_1
	v_mul_f16_sdwa v60, v38, v7 dst_sel:DWORD dst_unused:UNUSED_PAD src0_sel:DWORD src1_sel:WORD_1
	v_fma_f16 v35, v35, v5, v57
	v_fma_f16 v13, v13, v6, -v58
	v_add_f16_sdwa v55, v2, v33 dst_sel:DWORD dst_unused:UNUSED_PAD src0_sel:WORD_1 src1_sel:DWORD
	v_add_f16_e32 v54, v54, v12
	v_mul_f16_sdwa v61, v14, v7 dst_sel:DWORD dst_unused:UNUSED_PAD src0_sel:DWORD src1_sel:WORD_1
	s_waitcnt vmcnt(1)
	v_mul_f16_sdwa v62, v39, v8 dst_sel:DWORD dst_unused:UNUSED_PAD src0_sel:DWORD src1_sel:WORD_1
	v_fma_f16 v36, v36, v6, v59
	v_fma_f16 v14, v14, v7, -v60
	v_add_f16_e32 v55, v55, v35
	v_add_f16_e32 v54, v54, v13
	v_mul_f16_sdwa v63, v15, v8 dst_sel:DWORD dst_unused:UNUSED_PAD src0_sel:DWORD src1_sel:WORD_1
	v_mul_f16_sdwa v64, v40, v9 dst_sel:DWORD dst_unused:UNUSED_PAD src0_sel:DWORD src1_sel:WORD_1
	v_fma_f16 v38, v38, v7, v61
	v_fma_f16 v15, v15, v8, -v62
	v_add_f16_e32 v55, v55, v36
	v_add_f16_e32 v54, v54, v14
	v_mul_f16_sdwa v65, v16, v9 dst_sel:DWORD dst_unused:UNUSED_PAD src0_sel:DWORD src1_sel:WORD_1
	;; [unrolled: 6-line block ×4, first 2 shown]
	s_waitcnt vmcnt(0)
	v_mul_f16_sdwa v70, v53, v26 dst_sel:DWORD dst_unused:UNUSED_PAD src0_sel:DWORD src1_sel:WORD_1
	v_mul_f16_sdwa v72, v37, v27 dst_sel:DWORD dst_unused:UNUSED_PAD src0_sel:DWORD src1_sel:WORD_1
	;; [unrolled: 1-line block ×3, first 2 shown]
	v_fma_f16 v41, v41, v10, v67
	v_fma_f16 v18, v18, v11, -v68
	v_add_f16_e32 v55, v55, v40
	v_add_f16_e32 v54, v54, v17
	v_mul_f16_sdwa v71, v19, v26 dst_sel:DWORD dst_unused:UNUSED_PAD src0_sel:DWORD src1_sel:WORD_1
	v_fma_f16 v52, v52, v11, v69
	v_fma_f16 v19, v19, v26, -v70
	v_fma_f16 v30, v30, v27, -v72
	v_fma_f16 v37, v37, v27, v73
	v_add_f16_e32 v55, v55, v41
	v_add_f16_e32 v54, v54, v18
	v_fma_f16 v53, v53, v26, v71
	v_add_f16_e32 v56, v3, v30
	v_add_f16_e32 v57, v33, v37
	v_sub_f16_e32 v3, v3, v30
	v_sub_f16_e32 v33, v33, v37
	v_add_f16_e32 v55, v55, v52
	v_add_f16_e32 v54, v54, v19
	;; [unrolled: 1-line block ×4, first 2 shown]
	v_mul_f16_e32 v30, 0xb853, v33
	v_mul_f16_e32 v58, 0xb853, v3
	;; [unrolled: 1-line block ×10, first 2 shown]
	v_add_f16_e32 v37, v55, v37
	v_fma_f16 v55, v56, s6, -v30
	v_fma_f16 v59, v57, s6, v58
	v_fma_f16 v30, v56, s6, v30
	v_fma_f16 v58, v57, s6, -v58
	v_fma_f16 v61, v56, s0, -v60
	v_fma_f16 v63, v57, s0, v62
	v_fma_f16 v60, v56, s0, v60
	v_fma_f16 v62, v57, s0, -v62
	;; [unrolled: 4-line block ×5, first 2 shown]
	v_add_f16_e32 v55, v2, v55
	v_add_f16_sdwa v59, v2, v59 dst_sel:DWORD dst_unused:UNUSED_PAD src0_sel:WORD_1 src1_sel:DWORD
	v_add_f16_e32 v30, v2, v30
	v_add_f16_sdwa v58, v2, v58 dst_sel:DWORD dst_unused:UNUSED_PAD src0_sel:WORD_1 src1_sel:DWORD
	v_add_f16_e32 v61, v2, v61
	v_add_f16_sdwa v63, v2, v63 dst_sel:DWORD dst_unused:UNUSED_PAD src0_sel:WORD_1 src1_sel:DWORD
	v_add_f16_e32 v60, v2, v60
	v_add_f16_sdwa v62, v2, v62 dst_sel:DWORD dst_unused:UNUSED_PAD src0_sel:WORD_1 src1_sel:DWORD
	v_add_f16_e32 v65, v2, v65
	v_add_f16_sdwa v67, v2, v67 dst_sel:DWORD dst_unused:UNUSED_PAD src0_sel:WORD_1 src1_sel:DWORD
	v_add_f16_e32 v64, v2, v64
	v_add_f16_sdwa v66, v2, v66 dst_sel:DWORD dst_unused:UNUSED_PAD src0_sel:WORD_1 src1_sel:DWORD
	v_add_f16_e32 v69, v2, v69
	v_add_f16_sdwa v71, v2, v71 dst_sel:DWORD dst_unused:UNUSED_PAD src0_sel:WORD_1 src1_sel:DWORD
	v_add_f16_e32 v68, v2, v68
	v_add_f16_sdwa v70, v2, v70 dst_sel:DWORD dst_unused:UNUSED_PAD src0_sel:WORD_1 src1_sel:DWORD
	v_add_f16_e32 v72, v2, v72
	v_add_f16_sdwa v73, v2, v73 dst_sel:DWORD dst_unused:UNUSED_PAD src0_sel:WORD_1 src1_sel:DWORD
	v_add_f16_e32 v33, v2, v33
	v_add_f16_sdwa v2, v2, v3 dst_sel:DWORD dst_unused:UNUSED_PAD src0_sel:WORD_1 src1_sel:DWORD
	v_add_f16_e32 v3, v12, v19
	v_sub_f16_e32 v12, v12, v19
	v_sub_f16_e32 v19, v35, v53
	v_add_f16_e32 v56, v35, v53
	v_mul_f16_e32 v35, 0xbb47, v19
	v_fma_f16 v53, v3, s0, -v35
	v_add_f16_e32 v53, v53, v55
	v_mul_f16_e32 v55, 0xbb47, v12
	v_fma_f16 v35, v3, s0, v35
	v_fma_f16 v57, v56, s0, v55
	v_add_f16_e32 v30, v35, v30
	v_fma_f16 v35, v56, s0, -v55
	v_mul_f16_e32 v55, 0xba0c, v19
	v_add_f16_e32 v57, v57, v59
	v_add_f16_e32 v35, v35, v58
	v_fma_f16 v58, v3, s7, -v55
	v_mul_f16_e32 v59, 0xba0c, v12
	v_fma_f16 v55, v3, s7, v55
	v_add_f16_e32 v58, v58, v61
	v_fma_f16 v61, v56, s7, v59
	v_add_f16_e32 v55, v55, v60
	v_fma_f16 v59, v56, s7, -v59
	v_mul_f16_e32 v60, 0x3482, v19
	v_add_f16_e32 v61, v61, v63
	v_add_f16_e32 v59, v59, v62
	v_fma_f16 v62, v3, s14, -v60
	v_mul_f16_e32 v63, 0x3482, v12
	v_fma_f16 v60, v3, s14, v60
	v_add_f16_e32 v62, v62, v65
	v_fma_f16 v65, v56, s14, v63
	v_add_f16_e32 v60, v60, v64
	v_fma_f16 v63, v56, s14, -v63
	v_mul_f16_e32 v64, 0x3beb, v19
	v_add_f16_e32 v65, v65, v67
	v_add_f16_e32 v63, v63, v66
	v_fma_f16 v66, v3, s1, -v64
	v_mul_f16_e32 v67, 0x3beb, v12
	v_add_f16_e32 v66, v66, v69
	v_fma_f16 v69, v56, s1, v67
	v_fma_f16 v67, v56, s1, -v67
	v_mul_f16_e32 v12, 0x3853, v12
	v_fma_f16 v64, v3, s1, v64
	v_add_f16_e32 v67, v67, v70
	v_mul_f16_e32 v19, 0x3853, v19
	v_fma_f16 v70, v56, s6, v12
	v_fma_f16 v12, v56, s6, -v12
	v_add_f16_e32 v64, v64, v68
	v_fma_f16 v68, v3, s6, -v19
	v_fma_f16 v3, v3, s6, v19
	v_add_f16_e32 v2, v12, v2
	v_add_f16_e32 v12, v13, v18
	v_sub_f16_e32 v13, v13, v18
	v_sub_f16_e32 v18, v36, v52
	v_add_f16_e32 v3, v3, v33
	v_mul_f16_e32 v33, 0xbbeb, v18
	v_add_f16_e32 v19, v36, v52
	v_fma_f16 v36, v12, s1, -v33
	v_mul_f16_e32 v52, 0xbbeb, v13
	v_fma_f16 v33, v12, s1, v33
	v_add_f16_e32 v30, v33, v30
	v_fma_f16 v33, v19, s1, -v52
	v_add_f16_e32 v33, v33, v35
	v_mul_f16_e32 v35, 0x3482, v18
	v_add_f16_e32 v36, v36, v53
	v_fma_f16 v53, v19, s1, v52
	v_fma_f16 v52, v12, s14, -v35
	v_mul_f16_e32 v56, 0x3482, v13
	v_fma_f16 v35, v12, s14, v35
	v_add_f16_e32 v53, v53, v57
	v_fma_f16 v57, v19, s14, v56
	v_add_f16_e32 v35, v35, v55
	v_fma_f16 v55, v19, s14, -v56
	v_mul_f16_e32 v56, 0x3b47, v18
	v_add_f16_e32 v52, v52, v58
	v_fma_f16 v58, v12, s0, -v56
	v_fma_f16 v56, v12, s0, v56
	v_add_f16_e32 v55, v55, v59
	v_mul_f16_e32 v59, 0x3b47, v13
	v_add_f16_e32 v56, v56, v60
	v_mul_f16_e32 v60, 0xb853, v18
	v_add_f16_e32 v57, v57, v61
	v_add_f16_e32 v58, v58, v62
	v_fma_f16 v61, v19, s0, v59
	v_fma_f16 v59, v19, s0, -v59
	v_fma_f16 v62, v12, s6, -v60
	v_fma_f16 v60, v12, s6, v60
	v_mul_f16_e32 v18, 0xba0c, v18
	v_add_f16_e32 v59, v59, v63
	v_mul_f16_e32 v63, 0xb853, v13
	v_add_f16_e32 v60, v60, v64
	v_fma_f16 v64, v12, s7, -v18
	v_mul_f16_e32 v13, 0xba0c, v13
	v_fma_f16 v12, v12, s7, v18
	v_add_f16_e32 v3, v12, v3
	v_fma_f16 v12, v19, s7, -v13
	v_add_f16_e32 v2, v12, v2
	v_add_f16_e32 v12, v14, v17
	v_sub_f16_e32 v14, v14, v17
	v_sub_f16_e32 v17, v38, v41
	v_mul_f16_e32 v18, 0xba0c, v17
	v_add_f16_e32 v61, v61, v65
	v_add_f16_e32 v62, v62, v66
	v_fma_f16 v65, v19, s6, v63
	v_fma_f16 v63, v19, s6, -v63
	v_fma_f16 v66, v19, s7, v13
	v_fma_f16 v19, v12, s7, -v18
	v_add_f16_e32 v13, v38, v41
	v_add_f16_e32 v19, v19, v36
	v_mul_f16_e32 v36, 0xba0c, v14
	v_fma_f16 v18, v12, s7, v18
	v_add_f16_e32 v18, v18, v30
	v_fma_f16 v30, v13, s7, -v36
	v_add_f16_e32 v33, v30, v33
	v_mul_f16_e32 v30, 0x3beb, v17
	v_fma_f16 v38, v13, s7, v36
	v_fma_f16 v36, v12, s1, -v30
	v_mul_f16_e32 v41, 0x3beb, v14
	v_fma_f16 v30, v12, s1, v30
	v_add_f16_e32 v35, v30, v35
	v_fma_f16 v30, v13, s1, -v41
	v_add_f16_e32 v36, v36, v52
	v_fma_f16 v52, v13, s1, v41
	v_add_f16_e32 v41, v30, v55
	v_mul_f16_e32 v30, 0xb853, v17
	v_add_f16_e32 v38, v38, v53
	v_fma_f16 v53, v12, s6, -v30
	v_add_f16_e32 v55, v53, v58
	v_mul_f16_e32 v53, 0xb853, v14
	v_fma_f16 v30, v12, s6, v30
	v_add_f16_e32 v56, v30, v56
	v_fma_f16 v30, v13, s6, -v53
	v_add_f16_e32 v58, v30, v59
	v_mul_f16_e32 v30, 0xb482, v17
	v_add_f16_e32 v52, v52, v57
	v_fma_f16 v57, v13, s6, v53
	v_fma_f16 v53, v12, s14, -v30
	v_add_f16_e32 v59, v53, v62
	v_mul_f16_e32 v53, 0xb482, v14
	v_fma_f16 v30, v12, s14, v30
	v_add_f16_e32 v63, v63, v67
	v_add_f16_e32 v60, v30, v60
	v_fma_f16 v30, v13, s14, -v53
	v_mul_f16_e32 v17, 0x3b47, v17
	v_add_f16_e32 v68, v68, v72
	v_add_f16_e32 v62, v30, v63
	v_fma_f16 v30, v12, s0, -v17
	v_mul_f16_e32 v14, 0x3b47, v14
	v_fma_f16 v12, v12, s0, v17
	v_add_f16_e32 v64, v64, v68
	v_add_f16_e32 v3, v12, v3
	v_fma_f16 v12, v13, s0, -v14
	v_add_f16_e32 v63, v30, v64
	v_fma_f16 v30, v13, s0, v14
	v_add_f16_e32 v2, v12, v2
	v_add_f16_e32 v12, v15, v16
	v_sub_f16_e32 v14, v15, v16
	v_sub_f16_e32 v15, v39, v40
	v_mul_f16_e32 v16, 0xb482, v15
	v_add_f16_e32 v70, v70, v73
	v_fma_f16 v17, v12, s14, -v16
	v_add_f16_e32 v66, v66, v70
	v_add_f16_e32 v57, v57, v61
	v_fma_f16 v61, v13, s14, v53
	v_add_f16_e32 v13, v39, v40
	v_add_f16_e32 v17, v17, v19
	v_mul_f16_e32 v19, 0xb482, v14
	v_add_f16_e32 v64, v30, v66
	v_fma_f16 v30, v13, s14, v19
	v_fma_f16 v16, v12, s14, v16
	v_add_f16_e32 v38, v30, v38
	v_add_f16_e32 v30, v16, v18
	v_fma_f16 v16, v13, s14, -v19
	v_add_f16_e32 v53, v16, v33
	v_mul_f16_e32 v16, 0x3853, v15
	v_mul_f16_e32 v19, 0x3853, v14
	v_fma_f16 v18, v12, s6, -v16
	v_fma_f16 v33, v13, s6, v19
	v_fma_f16 v16, v12, s6, v16
	v_fma_f16 v19, v13, s6, -v19
	v_add_f16_e32 v16, v16, v35
	v_add_f16_e32 v19, v19, v41
	v_mul_f16_e32 v35, 0xba0c, v15
	v_mul_f16_e32 v41, 0x3b47, v15
	v_add_f16_e32 v18, v18, v36
	v_add_f16_e32 v33, v33, v52
	v_fma_f16 v36, v12, s7, -v35
	v_fma_f16 v52, v12, s0, -v41
	v_add_f16_e32 v36, v36, v55
	v_mul_f16_e32 v39, 0xba0c, v14
	v_fma_f16 v35, v12, s7, v35
	v_add_f16_e32 v55, v52, v59
	v_mul_f16_e32 v52, 0x3b47, v14
	v_fma_f16 v40, v13, s7, v39
	v_add_f16_e32 v35, v35, v56
	v_fma_f16 v56, v13, s0, v52
	v_fma_f16 v52, v13, s0, -v52
	v_mul_f16_e32 v15, 0xbbeb, v15
	v_add_f16_e32 v69, v69, v71
	v_add_f16_e32 v40, v40, v57
	v_fma_f16 v39, v13, s7, -v39
	v_fma_f16 v41, v12, s0, v41
	v_add_f16_e32 v57, v52, v62
	v_fma_f16 v52, v12, s1, -v15
	v_mul_f16_e32 v14, 0xbbeb, v14
	v_fma_f16 v12, v12, s1, v15
	v_add_f16_e32 v65, v65, v69
	v_add_f16_e32 v39, v39, v58
	;; [unrolled: 1-line block ×3, first 2 shown]
	v_fma_f16 v52, v13, s1, v14
	v_add_f16_e32 v3, v12, v3
	v_fma_f16 v12, v13, s1, -v14
	v_add_f16_e32 v61, v61, v65
	v_add_f16_e32 v59, v52, v64
	;; [unrolled: 1-line block ×3, first 2 shown]
	v_add_lshl_u32 v52, v253, v1, 2
	v_pack_b32_f16 v1, v54, v37
	v_pack_b32_f16 v12, v17, v38
	v_add_f16_e32 v56, v56, v61
	ds_write2_b32 v52, v1, v12 offset1:17
	v_pack_b32_f16 v1, v18, v33
	v_pack_b32_f16 v12, v36, v40
	v_add_f16_e32 v41, v41, v60
	ds_write2_b32 v52, v1, v12 offset0:34 offset1:51
	v_pack_b32_f16 v1, v55, v56
	v_pack_b32_f16 v12, v58, v59
	ds_write2_b32 v52, v1, v12 offset0:68 offset1:85
	v_pack_b32_f16 v1, v3, v2
	v_pack_b32_f16 v2, v41, v57
	;; [unrolled: 3-line block ×3, first 2 shown]
	ds_write2_b32 v52, v1, v2 offset0:136 offset1:153
	v_pack_b32_f16 v1, v30, v53
	ds_write_b32 v52, v1 offset:680
	v_add_u32_e32 v1, 0x200, v48
	s_waitcnt lgkmcnt(0)
	s_barrier
	ds_read2_b32 v[36:37], v48 offset1:85
	ds_read2_b32 v[32:33], v1 offset0:59 offset1:144
	ds_read2_b32 v[34:35], v34 offset0:118 offset1:203
	;; [unrolled: 1-line block ×3, first 2 shown]
	v_add_u32_e32 v2, 0xa00, v48
	ds_read2_b32 v[40:41], v2 offset0:108 offset1:193
	v_cmp_gt_u16_e64 s[0:1], 17, v20
	s_and_saveexec_b64 s[6:7], s[0:1]
	s_cbranch_execz .LBB0_9
; %bb.8:
	ds_read2_b32 v[30:31], v1 offset0:42 offset1:229
	ds_read2_b32 v[28:29], v0 offset0:32 offset1:219
	ds_read_b32 v24, v48 offset:3672
	s_waitcnt lgkmcnt(2)
	v_lshrrev_b32_e32 v53, 16, v30
	v_lshrrev_b32_e32 v45, 16, v31
	s_waitcnt lgkmcnt(1)
	v_lshrrev_b32_e32 v44, 16, v28
	v_lshrrev_b32_e32 v43, 16, v29
	s_waitcnt lgkmcnt(0)
	v_lshrrev_b32_e32 v42, 16, v24
.LBB0_9:
	s_or_b64 exec, exec, s[6:7]
	v_lshlrev_b32_e32 v0, 4, v20
	s_movk_i32 s14, 0xffef
	global_load_dwordx4 v[12:15], v0, s[4:5] offset:680
	v_add_u32_e32 v0, 0x550, v0
	s_mov_b64 s[6:7], 0xaa
	s_mov_b32 s15, -1
	global_load_dwordx4 v[16:19], v0, s[4:5] offset:680
	v_lshl_add_u64 v[0:1], v[20:21], 0, s[6:7]
	v_lshl_add_u64 v[2:3], v[20:21], 0, s[14:15]
	v_cndmask_b32_e64 v1, v3, v1, s[0:1]
	v_cndmask_b32_e64 v0, v2, v0, s[0:1]
	v_lshl_add_u64 v[0:1], v[0:1], 4, s[4:5]
	global_load_dwordx4 v[0:3], v[0:1], off offset:680
	s_waitcnt lgkmcnt(3)
	v_lshrrev_b32_e32 v54, 16, v32
	s_waitcnt lgkmcnt(2)
	v_lshrrev_b32_e32 v55, 16, v34
	;; [unrolled: 2-line block ×4, first 2 shown]
	v_lshrrev_b32_e32 v58, 16, v33
	v_lshrrev_b32_e32 v59, 16, v35
	;; [unrolled: 1-line block ×4, first 2 shown]
	s_movk_i32 s5, 0x3b9c
	s_movk_i32 s4, 0x38b4
	;; [unrolled: 1-line block ×3, first 2 shown]
	s_mov_b32 s7, 0xbb9c
	s_mov_b32 s14, 0xb8b4
	v_lshrrev_b32_e32 v21, 16, v36
	v_lshrrev_b32_e32 v60, 16, v37
	v_add_u32_e32 v170, v23, v46
	s_waitcnt vmcnt(2)
	v_mul_f16_sdwa v63, v54, v12 dst_sel:DWORD dst_unused:UNUSED_PAD src0_sel:DWORD src1_sel:WORD_1
	v_mul_f16_sdwa v65, v55, v13 dst_sel:DWORD dst_unused:UNUSED_PAD src0_sel:DWORD src1_sel:WORD_1
	;; [unrolled: 1-line block ×8, first 2 shown]
	v_fma_f16 v63, v32, v12, -v63
	v_fma_f16 v65, v34, v13, -v65
	;; [unrolled: 1-line block ×3, first 2 shown]
	s_waitcnt vmcnt(1)
	v_mul_f16_sdwa v32, v58, v16 dst_sel:DWORD dst_unused:UNUSED_PAD src0_sel:DWORD src1_sel:WORD_1
	v_fma_f16 v64, v54, v12, v64
	v_fma_f16 v66, v55, v13, v66
	;; [unrolled: 1-line block ×3, first 2 shown]
	v_fma_f16 v40, v40, v15, -v69
	v_fma_f16 v57, v57, v15, v70
	v_mul_f16_sdwa v34, v33, v16 dst_sel:DWORD dst_unused:UNUSED_PAD src0_sel:DWORD src1_sel:WORD_1
	v_mul_f16_sdwa v54, v59, v17 dst_sel:DWORD dst_unused:UNUSED_PAD src0_sel:DWORD src1_sel:WORD_1
	;; [unrolled: 1-line block ×6, first 2 shown]
	v_fma_f16 v71, v33, v16, -v32
	v_add_f16_e32 v32, v36, v63
	v_add_f16_e32 v33, v65, v38
	v_mul_f16_sdwa v56, v61, v18 dst_sel:DWORD dst_unused:UNUSED_PAD src0_sel:DWORD src1_sel:WORD_1
	v_fma_f16 v73, v35, v17, -v54
	v_fma_f16 v74, v59, v17, v55
	v_fma_f16 v61, v61, v18, v68
	v_fma_f16 v68, v41, v19, -v69
	v_fma_f16 v62, v62, v19, v70
	v_sub_f16_e32 v35, v64, v57
	s_waitcnt vmcnt(0)
	v_mul_f16_sdwa v59, v43, v2 dst_sel:DWORD dst_unused:UNUSED_PAD src0_sel:DWORD src1_sel:WORD_1
	v_mul_f16_sdwa v69, v29, v2 dst_sel:DWORD dst_unused:UNUSED_PAD src0_sel:DWORD src1_sel:WORD_1
	v_mul_f16_sdwa v70, v42, v3 dst_sel:DWORD dst_unused:UNUSED_PAD src0_sel:DWORD src1_sel:WORD_1
	v_add_f16_e32 v32, v32, v65
	v_fma_f16 v33, v33, -0.5, v36
	v_fma_f16 v72, v58, v16, v34
	v_fma_f16 v75, v39, v18, -v56
	v_sub_f16_e32 v39, v66, v67
	v_sub_f16_e32 v34, v63, v65
	;; [unrolled: 1-line block ×3, first 2 shown]
	v_mul_f16_sdwa v56, v44, v1 dst_sel:DWORD dst_unused:UNUSED_PAD src0_sel:DWORD src1_sel:WORD_1
	v_mul_f16_sdwa v76, v24, v3 dst_sel:DWORD dst_unused:UNUSED_PAD src0_sel:DWORD src1_sel:WORD_1
	v_fma_f16 v80, v29, v2, -v59
	v_fma_f16 v81, v43, v2, v69
	v_fma_f16 v69, v24, v3, -v70
	v_add_f16_e32 v24, v32, v38
	v_fma_f16 v29, v35, s5, v33
	v_mul_f16_sdwa v58, v28, v1 dst_sel:DWORD dst_unused:UNUSED_PAD src0_sel:DWORD src1_sel:WORD_1
	v_add_f16_e32 v34, v34, v41
	v_fma_f16 v78, v28, v1, -v56
	v_add_f16_e32 v28, v24, v40
	v_fma_f16 v24, v39, s4, v29
	v_fma_f16 v29, v34, s6, v24
	;; [unrolled: 1-line block ×5, first 2 shown]
	v_add_f16_e32 v24, v63, v40
	v_fma_f16 v24, v24, -0.5, v36
	v_fma_f16 v33, v39, s7, v24
	v_sub_f16_e32 v34, v65, v63
	v_sub_f16_e32 v36, v38, v40
	v_fma_f16 v24, v39, s5, v24
	v_add_f16_e32 v36, v34, v36
	v_fma_f16 v24, v35, s14, v24
	v_fma_f16 v33, v35, s4, v33
	;; [unrolled: 1-line block ×3, first 2 shown]
	v_add_f16_e32 v24, v21, v64
	v_add_f16_e32 v24, v24, v66
	v_mul_f16_sdwa v54, v45, v0 dst_sel:DWORD dst_unused:UNUSED_PAD src0_sel:DWORD src1_sel:WORD_1
	v_add_f16_e32 v24, v24, v67
	v_mul_f16_sdwa v55, v31, v0 dst_sel:DWORD dst_unused:UNUSED_PAD src0_sel:DWORD src1_sel:WORD_1
	v_fma_f16 v31, v31, v0, -v54
	v_add_f16_e32 v54, v24, v57
	v_add_f16_e32 v24, v66, v67
	v_fma_f16 v34, v36, s6, v33
	v_fma_f16 v24, v24, -0.5, v21
	v_sub_f16_e32 v33, v63, v40
	v_fma_f16 v36, v33, s7, v24
	v_sub_f16_e32 v38, v65, v38
	v_sub_f16_e32 v39, v64, v66
	;; [unrolled: 1-line block ×3, first 2 shown]
	v_fma_f16 v24, v33, s5, v24
	v_add_f16_e32 v39, v39, v40
	v_fma_f16 v24, v38, s4, v24
	v_fma_f16 v56, v39, s6, v24
	v_add_f16_e32 v24, v64, v57
	v_fma_f16 v36, v38, s14, v36
	v_fma_f16 v21, v24, -0.5, v21
	v_fma_f16 v77, v45, v0, v55
	v_fma_f16 v55, v39, s6, v36
	;; [unrolled: 1-line block ×3, first 2 shown]
	v_sub_f16_e32 v36, v66, v64
	v_sub_f16_e32 v39, v67, v57
	v_fma_f16 v21, v38, s7, v21
	v_add_f16_e32 v36, v36, v39
	v_fma_f16 v21, v33, s4, v21
	v_fma_f16 v59, v36, s6, v21
	v_add_f16_e32 v21, v37, v71
	v_add_f16_e32 v21, v21, v73
	;; [unrolled: 1-line block ×3, first 2 shown]
	v_fma_f16 v24, v33, s14, v24
	v_add_f16_e32 v33, v21, v68
	v_add_f16_e32 v21, v73, v75
	v_fma_f16 v79, v44, v1, v58
	v_fma_f16 v58, v36, s6, v24
	v_fma_f16 v21, v21, -0.5, v37
	v_sub_f16_e32 v24, v72, v62
	v_fma_f16 v36, v24, s5, v21
	v_sub_f16_e32 v40, v74, v61
	v_sub_f16_e32 v38, v71, v73
	;; [unrolled: 1-line block ×3, first 2 shown]
	v_fma_f16 v21, v24, s7, v21
	v_add_f16_e32 v39, v38, v39
	v_fma_f16 v21, v40, s14, v21
	v_fma_f16 v41, v39, s6, v21
	v_add_f16_e32 v21, v71, v68
	v_fma_f16 v36, v40, s4, v36
	v_fma_f16 v21, v21, -0.5, v37
	v_fma_f16 v38, v39, s6, v36
	v_fma_f16 v36, v40, s7, v21
	v_sub_f16_e32 v37, v73, v71
	v_sub_f16_e32 v39, v75, v68
	v_fma_f16 v21, v40, s5, v21
	v_add_f16_e32 v37, v37, v39
	v_fma_f16 v21, v24, s14, v21
	v_fma_f16 v40, v37, s6, v21
	v_add_f16_e32 v21, v60, v72
	v_add_f16_e32 v21, v21, v74
	v_add_f16_e32 v21, v21, v61
	v_add_f16_e32 v64, v21, v62
	v_add_f16_e32 v21, v74, v61
	v_fma_f16 v36, v24, s4, v36
	v_fma_f16 v21, v21, -0.5, v60
	v_sub_f16_e32 v24, v71, v68
	v_fma_f16 v76, v42, v3, v76
	v_fma_f16 v39, v37, s6, v36
	;; [unrolled: 1-line block ×3, first 2 shown]
	v_sub_f16_e32 v37, v73, v75
	v_sub_f16_e32 v42, v72, v74
	;; [unrolled: 1-line block ×3, first 2 shown]
	v_fma_f16 v21, v24, s5, v21
	v_add_f16_e32 v42, v42, v43
	v_fma_f16 v21, v37, s4, v21
	v_fma_f16 v66, v42, s6, v21
	v_add_f16_e32 v21, v72, v62
	v_fma_f16 v36, v37, s14, v36
	v_fma_f16 v21, v21, -0.5, v60
	v_fma_f16 v65, v42, s6, v36
	v_fma_f16 v36, v37, s5, v21
	v_sub_f16_e32 v42, v74, v72
	v_sub_f16_e32 v43, v61, v62
	v_fma_f16 v21, v37, s7, v21
	v_add_f16_e32 v42, v42, v43
	v_fma_f16 v21, v24, s4, v21
	v_fma_f16 v68, v42, s6, v21
	v_add_f16_e32 v21, v30, v31
	v_add_f16_e32 v21, v21, v78
	v_fma_f16 v36, v24, s14, v36
	v_add_f16_e32 v21, v21, v80
	v_fma_f16 v67, v42, s6, v36
	v_add_f16_e32 v42, v21, v69
	v_add_f16_e32 v21, v78, v80
	v_fma_f16 v21, v21, -0.5, v30
	v_sub_f16_e32 v36, v77, v76
	v_fma_f16 v24, v36, s5, v21
	v_sub_f16_e32 v37, v79, v81
	v_sub_f16_e32 v43, v31, v78
	;; [unrolled: 1-line block ×3, first 2 shown]
	v_fma_f16 v21, v36, s7, v21
	v_fma_f16 v24, v37, s4, v24
	v_add_f16_e32 v44, v43, v44
	v_fma_f16 v21, v37, s14, v21
	v_fma_f16 v43, v44, s6, v24
	v_fma_f16 v24, v44, s6, v21
	v_add_f16_e32 v21, v31, v69
	v_fma_f16 v21, v21, -0.5, v30
	v_fma_f16 v30, v37, s7, v21
	v_sub_f16_e32 v44, v78, v31
	v_sub_f16_e32 v45, v80, v69
	v_fma_f16 v21, v37, s5, v21
	v_fma_f16 v30, v36, s4, v30
	v_add_f16_e32 v45, v44, v45
	v_fma_f16 v21, v36, s14, v21
	v_fma_f16 v44, v45, s6, v30
	;; [unrolled: 1-line block ×3, first 2 shown]
	v_add_f16_e32 v21, v53, v77
	v_add_f16_e32 v21, v21, v79
	;; [unrolled: 1-line block ×5, first 2 shown]
	v_fma_f16 v21, v21, -0.5, v53
	v_sub_f16_e32 v31, v31, v69
	v_fma_f16 v36, v31, s7, v21
	v_sub_f16_e32 v37, v78, v80
	v_sub_f16_e32 v57, v77, v79
	;; [unrolled: 1-line block ×3, first 2 shown]
	v_fma_f16 v21, v31, s5, v21
	v_add_f16_e32 v57, v57, v60
	v_fma_f16 v21, v37, s4, v21
	v_fma_f16 v70, v57, s6, v21
	v_add_f16_e32 v21, v77, v76
	v_fma_f16 v36, v37, s14, v36
	v_fma_f16 v21, v21, -0.5, v53
	v_fma_f16 v69, v57, s6, v36
	v_fma_f16 v36, v37, s5, v21
	v_sub_f16_e32 v53, v79, v77
	v_sub_f16_e32 v57, v81, v76
	v_fma_f16 v21, v37, s7, v21
	v_add_f16_e32 v53, v53, v57
	v_fma_f16 v21, v31, s4, v21
	v_fma_f16 v36, v31, s14, v36
	;; [unrolled: 1-line block ×3, first 2 shown]
	v_lshl_add_u32 v21, v20, 2, v46
	v_fma_f16 v71, v53, s6, v36
	v_pack_b32_f16 v36, v29, v55
	v_pack_b32_f16 v37, v34, v58
	v_add_u32_e32 v53, 0x200, v21
	ds_write2_b32 v53, v36, v37 offset0:59 offset1:246
	v_pack_b32_f16 v36, v35, v59
	v_pack_b32_f16 v37, v32, v56
	v_add_u32_e32 v53, 0x800, v21
	v_pack_b32_f16 v31, v28, v54
	ds_write2_b32 v53, v36, v37 offset0:49 offset1:236
	v_pack_b32_f16 v36, v33, v64
	ds_write2_b32 v21, v31, v36 offset1:85
	v_pack_b32_f16 v31, v38, v65
	v_pack_b32_f16 v36, v39, v67
	v_add_u32_e32 v37, 0x400, v170
	ds_write2_b32 v37, v31, v36 offset0:16 offset1:203
	v_pack_b32_f16 v31, v40, v68
	v_pack_b32_f16 v36, v41, v66
	v_add_u32_e32 v37, 0xa00, v170
	ds_write2_b32 v37, v31, v36 offset0:6 offset1:193
	s_and_saveexec_b64 s[4:5], s[0:1]
	s_cbranch_execz .LBB0_11
; %bb.10:
	s_mov_b32 s6, 0x5040100
	v_perm_b32 v31, v30, v42, s6
	v_perm_b32 v36, v69, v43, s6
	v_add_u32_e32 v37, 0x200, v21
	ds_write2_b32 v37, v31, v36 offset0:42 offset1:229
	v_perm_b32 v31, v71, v44, s6
	v_perm_b32 v36, v72, v45, s6
	v_add_u32_e32 v37, 0x800, v21
	ds_write2_b32 v37, v31, v36 offset0:32 offset1:219
	v_perm_b32 v31, v70, v24, s6
	ds_write_b32 v21, v31 offset:3672
.LBB0_11:
	s_or_b64 exec, exec, s[4:5]
	s_waitcnt lgkmcnt(0)
	s_barrier
	s_and_saveexec_b64 s[4:5], vcc
	s_cbranch_execz .LBB0_13
; %bb.12:
	global_load_dword v31, v23, s[12:13] offset:3740
	s_add_u32 s6, s12, 0xe9c
	s_addc_u32 s7, s13, 0
	global_load_dword v57, v23, s[6:7] offset:220
	global_load_dword v73, v23, s[6:7] offset:440
	;; [unrolled: 1-line block ×9, first 2 shown]
	ds_read2_b32 v[36:37], v21 offset1:55
	ds_read2_b32 v[60:61], v21 offset0:110 offset1:165
	global_load_dword v85, v23, s[6:7] offset:2200
	v_add_u32_e32 v86, 0x200, v21
	v_add_u32_e32 v87, 0x400, v21
	ds_read2_b32 v[62:63], v86 offset0:92 offset1:147
	ds_read2_b32 v[74:75], v87 offset0:74 offset1:129
	;; [unrolled: 1-line block ×3, first 2 shown]
	global_load_dword v88, v23, s[6:7] offset:2420
	global_load_dword v89, v23, s[6:7] offset:2640
	;; [unrolled: 1-line block ×6, first 2 shown]
	s_waitcnt lgkmcnt(4)
	v_lshrrev_b32_e32 v94, 16, v36
	v_lshrrev_b32_e32 v95, 16, v37
	s_waitcnt lgkmcnt(3)
	v_lshrrev_b32_e32 v96, 16, v60
	v_lshrrev_b32_e32 v97, 16, v61
	;; [unrolled: 3-line block ×5, first 2 shown]
	s_waitcnt vmcnt(13)
	v_mul_f16_sdwa v106, v97, v78 dst_sel:DWORD dst_unused:UNUSED_PAD src0_sel:DWORD src1_sel:WORD_1
	v_mul_f16_sdwa v107, v61, v78 dst_sel:DWORD dst_unused:UNUSED_PAD src0_sel:DWORD src1_sel:WORD_1
	s_waitcnt vmcnt(12)
	v_mul_f16_sdwa v108, v98, v79 dst_sel:DWORD dst_unused:UNUSED_PAD src0_sel:DWORD src1_sel:WORD_1
	v_mul_f16_sdwa v104, v94, v31 dst_sel:DWORD dst_unused:UNUSED_PAD src0_sel:DWORD src1_sel:WORD_1
	;; [unrolled: 1-line block ×3, first 2 shown]
	v_fma_f16 v36, v36, v31, -v104
	v_fma_f16 v31, v94, v31, v105
	v_pack_b32_f16 v31, v36, v31
	v_mul_f16_sdwa v36, v95, v57 dst_sel:DWORD dst_unused:UNUSED_PAD src0_sel:DWORD src1_sel:WORD_1
	v_mul_f16_sdwa v94, v37, v57 dst_sel:DWORD dst_unused:UNUSED_PAD src0_sel:DWORD src1_sel:WORD_1
	;; [unrolled: 1-line block ×5, first 2 shown]
	s_waitcnt vmcnt(11)
	v_mul_f16_sdwa v110, v99, v80 dst_sel:DWORD dst_unused:UNUSED_PAD src0_sel:DWORD src1_sel:WORD_1
	v_mul_f16_sdwa v111, v63, v80 dst_sel:DWORD dst_unused:UNUSED_PAD src0_sel:DWORD src1_sel:WORD_1
	s_waitcnt vmcnt(10)
	v_mul_f16_sdwa v112, v100, v81 dst_sel:DWORD dst_unused:UNUSED_PAD src0_sel:DWORD src1_sel:WORD_1
	v_mul_f16_sdwa v113, v74, v81 dst_sel:DWORD dst_unused:UNUSED_PAD src0_sel:DWORD src1_sel:WORD_1
	;; [unrolled: 3-line block ×3, first 2 shown]
	v_fma_f16 v36, v37, v57, -v36
	v_fma_f16 v37, v95, v57, v94
	v_fma_f16 v57, v60, v73, -v104
	v_fma_f16 v60, v96, v73, v105
	;; [unrolled: 2-line block ×7, first 2 shown]
	v_pack_b32_f16 v36, v36, v37
	v_pack_b32_f16 v37, v57, v60
	;; [unrolled: 1-line block ×7, first 2 shown]
	ds_write2_b32 v21, v31, v36 offset1:55
	ds_write2_b32 v21, v37, v57 offset0:110 offset1:165
	ds_write2_b32 v86, v60, v61 offset0:92 offset1:147
	;; [unrolled: 1-line block ×3, first 2 shown]
	v_add_u32_e32 v57, 0x800, v21
	ds_read2_b32 v[36:37], v57 offset0:38 offset1:93
	s_waitcnt vmcnt(8)
	v_mul_f16_sdwa v116, v102, v83 dst_sel:DWORD dst_unused:UNUSED_PAD src0_sel:DWORD src1_sel:WORD_1
	v_mul_f16_sdwa v117, v76, v83 dst_sel:DWORD dst_unused:UNUSED_PAD src0_sel:DWORD src1_sel:WORD_1
	s_waitcnt vmcnt(7)
	v_mul_f16_sdwa v118, v103, v84 dst_sel:DWORD dst_unused:UNUSED_PAD src0_sel:DWORD src1_sel:WORD_1
	v_mul_f16_sdwa v60, v77, v84 dst_sel:DWORD dst_unused:UNUSED_PAD src0_sel:DWORD src1_sel:WORD_1
	v_fma_f16 v76, v76, v83, -v116
	v_fma_f16 v82, v102, v83, v117
	v_fma_f16 v31, v77, v84, -v118
	v_fma_f16 v60, v103, v84, v60
	v_pack_b32_f16 v73, v76, v82
	v_pack_b32_f16 v31, v31, v60
	ds_write2_b32 v87, v73, v31 offset0:184 offset1:239
	s_waitcnt lgkmcnt(1)
	v_lshrrev_b32_e32 v31, 16, v36
	s_waitcnt vmcnt(6)
	v_mul_f16_sdwa v60, v31, v85 dst_sel:DWORD dst_unused:UNUSED_PAD src0_sel:DWORD src1_sel:WORD_1
	v_fma_f16 v60, v36, v85, -v60
	v_mul_f16_sdwa v36, v36, v85 dst_sel:DWORD dst_unused:UNUSED_PAD src0_sel:DWORD src1_sel:WORD_1
	v_fma_f16 v31, v31, v85, v36
	v_lshrrev_b32_e32 v36, 16, v37
	v_pack_b32_f16 v31, v60, v31
	s_waitcnt vmcnt(5)
	v_mul_f16_sdwa v60, v36, v88 dst_sel:DWORD dst_unused:UNUSED_PAD src0_sel:DWORD src1_sel:WORD_1
	v_fma_f16 v62, v37, v88, -v60
	ds_read2_b32 v[60:61], v57 offset0:148 offset1:203
	v_mul_f16_sdwa v37, v37, v88 dst_sel:DWORD dst_unused:UNUSED_PAD src0_sel:DWORD src1_sel:WORD_1
	v_fma_f16 v36, v36, v88, v37
	v_pack_b32_f16 v36, v62, v36
	ds_write2_b32 v57, v31, v36 offset0:38 offset1:93
	s_waitcnt lgkmcnt(1)
	v_lshrrev_b32_e32 v31, 16, v60
	s_waitcnt vmcnt(4)
	v_mul_f16_sdwa v36, v31, v89 dst_sel:DWORD dst_unused:UNUSED_PAD src0_sel:DWORD src1_sel:WORD_1
	v_mul_f16_sdwa v37, v60, v89 dst_sel:DWORD dst_unused:UNUSED_PAD src0_sel:DWORD src1_sel:WORD_1
	v_fma_f16 v36, v60, v89, -v36
	v_fma_f16 v31, v31, v89, v37
	v_lshrrev_b32_e32 v60, 16, v61
	v_pack_b32_f16 v31, v36, v31
	s_waitcnt vmcnt(3)
	v_mul_f16_sdwa v36, v60, v90 dst_sel:DWORD dst_unused:UNUSED_PAD src0_sel:DWORD src1_sel:WORD_1
	v_add_u32_e32 v63, 0xc00, v21
	v_fma_f16 v62, v61, v90, -v36
	ds_read2_b32 v[36:37], v63 offset0:2 offset1:57
	v_mul_f16_sdwa v61, v61, v90 dst_sel:DWORD dst_unused:UNUSED_PAD src0_sel:DWORD src1_sel:WORD_1
	v_fma_f16 v60, v60, v90, v61
	v_pack_b32_f16 v60, v62, v60
	ds_write2_b32 v57, v31, v60 offset0:148 offset1:203
	s_waitcnt lgkmcnt(1)
	v_lshrrev_b32_e32 v31, 16, v36
	s_waitcnt vmcnt(2)
	v_mul_f16_sdwa v57, v31, v91 dst_sel:DWORD dst_unused:UNUSED_PAD src0_sel:DWORD src1_sel:WORD_1
	v_fma_f16 v57, v36, v91, -v57
	v_mul_f16_sdwa v36, v36, v91 dst_sel:DWORD dst_unused:UNUSED_PAD src0_sel:DWORD src1_sel:WORD_1
	v_fma_f16 v31, v31, v91, v36
	v_lshrrev_b32_e32 v36, 16, v37
	ds_read_b32 v60, v21 offset:3520
	v_pack_b32_f16 v31, v57, v31
	s_waitcnt vmcnt(1)
	v_mul_f16_sdwa v57, v36, v92 dst_sel:DWORD dst_unused:UNUSED_PAD src0_sel:DWORD src1_sel:WORD_1
	v_fma_f16 v57, v37, v92, -v57
	v_mul_f16_sdwa v37, v37, v92 dst_sel:DWORD dst_unused:UNUSED_PAD src0_sel:DWORD src1_sel:WORD_1
	v_fma_f16 v36, v36, v92, v37
	v_pack_b32_f16 v36, v57, v36
	ds_write2_b32 v63, v31, v36 offset0:2 offset1:57
	s_waitcnt lgkmcnt(1)
	v_lshrrev_b32_e32 v31, 16, v60
	s_waitcnt vmcnt(0)
	v_mul_f16_sdwa v36, v31, v93 dst_sel:DWORD dst_unused:UNUSED_PAD src0_sel:DWORD src1_sel:WORD_1
	v_mul_f16_sdwa v37, v60, v93 dst_sel:DWORD dst_unused:UNUSED_PAD src0_sel:DWORD src1_sel:WORD_1
	v_fma_f16 v36, v60, v93, -v36
	v_fma_f16 v31, v31, v93, v37
	v_pack_b32_f16 v31, v36, v31
	ds_write_b32 v21, v31 offset:3520
.LBB0_13:
	s_or_b64 exec, exec, s[4:5]
	s_waitcnt lgkmcnt(0)
	s_barrier
	s_and_saveexec_b64 s[4:5], vcc
	s_cbranch_execz .LBB0_15
; %bb.14:
	v_add_u32_e32 v24, 0x200, v21
	ds_read2_b32 v[28:29], v21 offset1:55
	ds_read2_b32 v[34:35], v21 offset0:110 offset1:165
	ds_read2_b32 v[32:33], v24 offset0:92 offset1:147
	v_add_u32_e32 v24, 0x400, v21
	ds_read2_b32 v[38:39], v24 offset0:74 offset1:129
	ds_read2_b32 v[40:41], v24 offset0:184 offset1:239
	v_add_u32_e32 v24, 0x800, v21
	;; [unrolled: 3-line block ×3, first 2 shown]
	ds_read2_b32 v[24:25], v24 offset0:2 offset1:57
	ds_read_b32 v209, v21 offset:3520
	s_waitcnt lgkmcnt(8)
	v_lshrrev_b32_e32 v54, 16, v28
	v_lshrrev_b32_e32 v55, 16, v29
	s_waitcnt lgkmcnt(7)
	v_lshrrev_b32_e32 v58, 16, v34
	v_lshrrev_b32_e32 v59, 16, v35
	;; [unrolled: 3-line block ×8, first 2 shown]
	s_waitcnt lgkmcnt(0)
	v_lshrrev_b32_e32 v47, 16, v209
.LBB0_15:
	s_or_b64 exec, exec, s[4:5]
	v_sub_f16_e32 v85, v55, v47
	v_add_f16_e32 v73, v209, v29
	v_add_f16_e32 v87, v47, v55
	s_movk_i32 s6, 0x3722
	v_mul_f16_e32 v95, 0xbb29, v85
	v_sub_f16_e32 v89, v58, v186
	v_sub_f16_e32 v74, v29, v209
	s_mov_b32 s15, 0xbb29
	v_mul_f16_e32 v97, 0x3722, v87
	v_fma_f16 v31, v73, s6, -v95
	s_mov_b32 s16, 0xb8d2
	v_add_f16_e32 v75, v25, v34
	v_add_f16_e32 v92, v186, v58
	v_mul_f16_e32 v100, 0xba62, v89
	v_add_f16_e32 v31, v28, v31
	v_fma_f16 v36, v74, s15, v97
	s_movk_i32 s7, 0x2de8
	v_mul_f16_e32 v101, 0xbbf7, v85
	s_mov_b32 s20, 0xba62
	v_sub_f16_e32 v76, v34, v25
	v_mul_f16_e32 v102, 0xb8d2, v92
	v_fma_f16 v77, v75, s16, -v100
	v_add_f16_e32 v36, v54, v36
	s_mov_b32 s17, 0xbbf7
	v_mul_f16_e32 v105, 0x2de8, v87
	v_fma_f16 v37, v73, s7, -v101
	v_add_f16_e32 v31, v77, v31
	v_fma_f16 v77, v76, s20, v102
	s_mov_b32 s19, 0xbbdd
	v_mul_f16_e32 v107, 0xb1e1, v89
	v_add_f16_e32 v37, v28, v37
	v_fma_f16 v57, v74, s17, v105
	s_mov_b32 s14, 0xb461
	v_mul_f16_e32 v109, 0xbbb2, v85
	v_add_f16_e32 v36, v77, v36
	s_mov_b32 s22, 0xb1e1
	v_mul_f16_e32 v112, 0xbbdd, v92
	v_fma_f16 v77, v75, s19, -v107
	v_add_f16_e32 v57, v54, v57
	s_mov_b32 s18, 0xbbb2
	v_mul_f16_e32 v114, 0xb461, v87
	v_fma_f16 v60, v73, s14, -v109
	v_add_f16_e32 v37, v77, v37
	v_fma_f16 v77, v76, s22, v112
	s_mov_b32 s21, 0xbacd
	v_mul_f16_e32 v119, 0x3836, v89
	v_add_f16_e32 v60, v28, v60
	v_fma_f16 v61, v74, s18, v114
	v_mul_f16_e32 v121, 0xba62, v85
	v_add_f16_e32 v57, v77, v57
	s_movk_i32 s25, 0x3836
	v_mul_f16_e32 v123, 0xbacd, v92
	v_fma_f16 v77, v75, s21, -v119
	v_add_f16_e32 v61, v54, v61
	v_mul_f16_e32 v126, 0xb8d2, v87
	v_fma_f16 v62, v73, s16, -v121
	v_add_f16_e32 v60, v77, v60
	v_fma_f16 v77, v76, s25, v123
	v_mul_f16_e32 v131, 0x3bb2, v89
	v_add_f16_e32 v62, v28, v62
	v_fma_f16 v63, v74, s20, v126
	v_add_f16_e32 v61, v77, v61
	s_movk_i32 s26, 0x3bb2
	v_mul_f16_e32 v135, 0xb461, v92
	v_fma_f16 v77, v75, s14, -v131
	v_add_f16_e32 v63, v54, v63
	v_add_f16_e32 v62, v77, v62
	v_fma_f16 v77, v76, s26, v135
	v_sub_f16_e32 v93, v59, v70
	v_add_f16_e32 v63, v77, v63
	v_add_f16_e32 v77, v24, v35
	;; [unrolled: 1-line block ×3, first 2 shown]
	v_mul_f16_e32 v106, 0x31e1, v93
	v_sub_f16_e32 v78, v35, v24
	s_movk_i32 s33, 0x31e1
	v_mul_f16_e32 v110, 0xbbdd, v94
	v_fma_f16 v79, v77, s19, -v106
	v_add_f16_e32 v31, v79, v31
	v_fma_f16 v79, v78, s33, v110
	v_mul_f16_e32 v115, 0x3bb2, v93
	v_add_f16_e32 v36, v79, v36
	v_mul_f16_e32 v120, 0xb461, v94
	v_fma_f16 v79, v77, s14, -v115
	v_add_f16_e32 v37, v79, v37
	v_fma_f16 v79, v78, s26, v120
	s_movk_i32 s23, 0x39e9
	v_mul_f16_e32 v128, 0x3964, v93
	v_add_f16_e32 v57, v79, v57
	s_movk_i32 s30, 0x3964
	v_mul_f16_e32 v132, 0x39e9, v94
	v_fma_f16 v79, v77, s23, -v128
	v_add_f16_e32 v60, v79, v60
	v_fma_f16 v79, v78, s30, v132
	s_movk_i32 s24, 0x3b76
	v_mul_f16_e32 v139, 0xb5c8, v93
	v_add_f16_e32 v61, v79, v61
	s_mov_b32 s27, 0xb5c8
	v_mul_f16_e32 v144, 0x3b76, v94
	v_fma_f16 v79, v77, s24, -v139
	v_add_f16_e32 v62, v79, v62
	v_fma_f16 v79, v78, s27, v144
	v_sub_f16_e32 v96, v56, v72
	v_add_f16_e32 v63, v79, v63
	v_add_f16_e32 v79, v45, v32
	;; [unrolled: 1-line block ×3, first 2 shown]
	v_mul_f16_e32 v113, 0x3bb2, v96
	v_sub_f16_e32 v80, v32, v45
	v_mul_f16_e32 v118, 0xb461, v98
	v_fma_f16 v81, v79, s14, -v113
	v_add_f16_e32 v31, v81, v31
	v_fma_f16 v81, v80, s26, v118
	v_mul_f16_e32 v125, 0x35c8, v96
	v_add_f16_e32 v36, v81, v36
	s_movk_i32 s29, 0x35c8
	v_mul_f16_e32 v130, 0x3b76, v98
	v_fma_f16 v81, v79, s24, -v125
	v_add_f16_e32 v37, v81, v37
	v_fma_f16 v81, v80, s29, v130
	v_mul_f16_e32 v136, 0xbb29, v96
	v_add_f16_e32 v57, v81, v57
	v_mul_f16_e32 v141, 0x3722, v98
	v_fma_f16 v81, v79, s6, -v136
	v_add_f16_e32 v60, v81, v60
	v_fma_f16 v81, v80, s15, v141
	v_mul_f16_e32 v147, 0xb836, v96
	v_add_f16_e32 v61, v81, v61
	s_mov_b32 s28, 0xb836
	v_mul_f16_e32 v152, 0xbacd, v98
	v_fma_f16 v81, v79, s21, -v147
	v_add_f16_e32 v62, v81, v62
	v_fma_f16 v81, v80, s28, v152
	v_sub_f16_e32 v99, v64, v71
	v_add_f16_e32 v63, v81, v63
	v_add_f16_e32 v81, v44, v33
	;; [unrolled: 1-line block ×3, first 2 shown]
	v_mul_f16_e32 v122, 0x3964, v99
	v_sub_f16_e32 v82, v33, v44
	v_mul_f16_e32 v127, 0x39e9, v103
	v_fma_f16 v83, v81, s23, -v122
	v_add_f16_e32 v31, v83, v31
	v_fma_f16 v83, v82, s30, v127
	v_mul_f16_e32 v133, 0xbb29, v99
	v_add_f16_e32 v36, v83, v36
	v_mul_f16_e32 v138, 0x3722, v103
	v_fma_f16 v83, v81, s6, -v133
	v_add_f16_e32 v37, v83, v37
	v_fma_f16 v83, v82, s15, v138
	v_mul_f16_e32 v143, 0xb1e1, v99
	v_add_f16_e32 v57, v83, v57
	;; [unrolled: 6-line block ×3, first 2 shown]
	s_movk_i32 s34, 0x3bf7
	v_mul_f16_e32 v158, 0x2de8, v103
	v_fma_f16 v83, v81, s7, -v154
	v_add_f16_e32 v62, v83, v62
	v_fma_f16 v83, v82, s34, v158
	v_sub_f16_e32 v104, v65, v69
	v_add_f16_e32 v63, v83, v63
	v_add_f16_e32 v83, v43, v38
	;; [unrolled: 1-line block ×3, first 2 shown]
	v_mul_f16_e32 v129, 0xb5c8, v104
	v_sub_f16_e32 v84, v38, v43
	v_mul_f16_e32 v134, 0x3b76, v108
	v_fma_f16 v86, v83, s24, -v129
	v_add_f16_e32 v31, v86, v31
	v_fma_f16 v86, v84, s27, v134
	v_mul_f16_e32 v140, 0xb836, v104
	v_add_f16_e32 v36, v86, v36
	v_mul_f16_e32 v146, 0xbacd, v108
	v_fma_f16 v86, v83, s21, -v140
	v_add_f16_e32 v37, v86, v37
	v_fma_f16 v86, v84, s28, v146
	v_mul_f16_e32 v151, 0x3bf7, v104
	v_add_f16_e32 v57, v86, v57
	v_mul_f16_e32 v156, 0x2de8, v108
	v_fma_f16 v86, v83, s7, -v151
	v_add_f16_e32 v60, v86, v60
	v_fma_f16 v86, v84, s34, v156
	v_mul_f16_e32 v160, 0xb964, v104
	v_add_f16_e32 v61, v86, v61
	s_mov_b32 s31, 0xb964
	v_mul_f16_e32 v163, 0x39e9, v108
	v_fma_f16 v86, v83, s23, -v160
	v_add_f16_e32 v62, v86, v62
	v_fma_f16 v86, v84, s31, v163
	v_sub_f16_e32 v111, v67, v30
	v_add_f16_e32 v63, v86, v63
	v_add_f16_e32 v86, v42, v39
	;; [unrolled: 1-line block ×3, first 2 shown]
	v_mul_f16_e32 v137, 0xbbf7, v111
	v_sub_f16_e32 v88, v39, v42
	v_mul_f16_e32 v142, 0x2de8, v116
	v_fma_f16 v90, v86, s7, -v137
	v_add_f16_e32 v31, v90, v31
	v_fma_f16 v90, v88, s17, v142
	v_mul_f16_e32 v149, 0x3a62, v111
	v_add_f16_e32 v36, v90, v36
	s_movk_i32 s35, 0x3a62
	v_mul_f16_e32 v153, 0xb8d2, v116
	v_fma_f16 v90, v86, s16, -v149
	v_add_f16_e32 v37, v90, v37
	v_fma_f16 v90, v88, s35, v153
	v_mul_f16_e32 v157, 0xb5c8, v111
	v_add_f16_e32 v162, v90, v57
	v_mul_f16_e32 v161, 0x3b76, v116
	v_fma_f16 v57, v86, s24, -v157
	v_add_f16_e32 v167, v57, v60
	v_fma_f16 v57, v88, s27, v161
	v_mul_f16_e32 v164, 0xb1e1, v111
	v_add_f16_e32 v168, v57, v61
	v_mul_f16_e32 v166, 0xbbdd, v116
	v_fma_f16 v57, v86, s19, -v164
	v_sub_f16_e32 v117, v68, v66
	v_add_f16_e32 v62, v57, v62
	v_fma_f16 v57, v88, s22, v166
	v_add_f16_e32 v90, v41, v40
	v_add_f16_e32 v124, v66, v68
	v_mul_f16_e32 v145, 0xb836, v117
	v_add_f16_e32 v169, v57, v63
	v_sub_f16_e32 v91, v40, v41
	v_mul_f16_e32 v150, 0xbacd, v124
	v_fma_f16 v57, v90, s21, -v145
	v_add_f16_e32 v57, v57, v31
	v_fma_f16 v31, v91, s28, v150
	v_mul_f16_e32 v155, 0x3964, v117
	v_add_f16_e32 v60, v31, v36
	v_mul_f16_e32 v159, 0x39e9, v124
	v_fma_f16 v31, v90, s23, -v155
	v_add_f16_e32 v37, v31, v37
	v_fma_f16 v31, v91, s30, v159
	v_add_f16_e32 v61, v31, v162
	v_mul_f16_e32 v162, 0xba62, v117
	v_mul_f16_e32 v165, 0xb8d2, v124
	v_fma_f16 v31, v90, s16, -v162
	v_add_f16_e32 v36, v31, v167
	v_fma_f16 v31, v91, s20, v165
	v_mul_f16_e32 v167, 0x3b29, v117
	v_add_f16_e32 v63, v31, v168
	s_movk_i32 s36, 0x3b29
	v_mul_f16_e32 v168, 0x3722, v124
	v_fma_f16 v31, v90, s6, -v167
	v_add_f16_e32 v31, v31, v62
	v_fma_f16 v62, v91, s36, v168
	v_add_f16_e32 v62, v62, v169
	s_barrier
	s_and_saveexec_b64 s[4:5], vcc
	s_cbranch_execz .LBB0_17
; %bb.16:
	v_mul_f16_e32 v233, 0xbbdd, v87
	v_fma_f16 v234, v74, s33, v233
	v_mul_f16_e32 v235, 0x3b76, v92
	v_add_f16_e32 v234, v54, v234
	v_fma_f16 v236, v76, s27, v235
	v_add_f16_e32 v234, v236, v234
	v_mul_f16_e32 v236, 0xbacd, v94
	v_fma_f16 v237, v78, s25, v236
	v_add_f16_e32 v234, v237, v234
	v_mul_f16_e32 v237, 0x39e9, v98
	;; [unrolled: 3-line block ×3, first 2 shown]
	v_add_f16_e32 v234, v238, v234
	v_mul_f16_e32 v238, 0xb8d2, v103
	v_add_f16_e32 v29, v34, v29
	v_accvgpr_write_b32 a6, v49
	v_mul_f16_e32 v49, 0xbb29, v74
	v_fma_f16 v239, v82, s35, v238
	v_add_f16_e32 v29, v35, v29
	v_accvgpr_write_b32 a9, v49
	v_mul_f16_e32 v49, 0xb8d2, v75
	v_add_f16_e32 v234, v239, v234
	v_mul_f16_e32 v239, 0x3722, v108
	v_add_f16_e32 v29, v32, v29
	v_accvgpr_write_b32 a7, v49
	v_mul_f16_e32 v49, 0xba62, v76
	v_fma_f16 v240, v84, s15, v239
	v_add_f16_e32 v29, v33, v29
	v_accvgpr_write_b32 a11, v49
	v_mul_f16_e32 v49, 0xbbdd, v77
	;; [unrolled: 9-line block ×3, first 2 shown]
	v_add_f16_e32 v234, v241, v234
	v_mul_f16_e32 v241, 0x2de8, v124
	v_add_f16_e32 v29, v40, v29
	v_accvgpr_write_b32 a10, v49
	v_mul_f16_e32 v49, 0x39e9, v81
	v_fma_f16 v242, v91, s17, v241
	v_add_f16_e32 v29, v41, v29
	v_mul_f16_e32 v171, 0x2de8, v73
	v_accvgpr_write_b32 a12, v49
	v_add_f16_e32 v49, v242, v234
	v_mul_f16_e32 v242, 0xb1e1, v85
	v_add_f16_e32 v29, v42, v29
	v_mul_f16_e32 v179, 0xbbdd, v75
	v_fma_f16 v243, v73, s19, v242
	v_mul_f16_e32 v244, 0x35c8, v89
	v_add_f16_e32 v101, v171, v101
	v_add_f16_e32 v29, v43, v29
	v_mul_f16_e32 v187, 0xb461, v77
	v_add_f16_e32 v243, v28, v243
	v_fma_f16 v245, v75, s24, v244
	v_add_f16_e32 v101, v28, v101
	v_add_f16_e32 v107, v179, v107
	;; [unrolled: 1-line block ×3, first 2 shown]
	v_mul_f16_e32 v195, 0x3b76, v79
	v_add_f16_e32 v243, v245, v243
	v_mul_f16_e32 v245, 0xb836, v93
	v_add_f16_e32 v101, v107, v101
	v_add_f16_e32 v107, v187, v115
	;; [unrolled: 1-line block ×3, first 2 shown]
	v_mul_f16_e32 v203, 0x3722, v81
	v_fma_f16 v246, v77, s21, v245
	v_add_f16_e32 v101, v107, v101
	v_add_f16_e32 v107, v195, v125
	;; [unrolled: 1-line block ×3, first 2 shown]
	v_mul_f16_e32 v211, 0xbacd, v83
	v_add_f16_e32 v243, v246, v243
	v_mul_f16_e32 v246, 0x3964, v96
	v_add_f16_e32 v101, v107, v101
	v_add_f16_e32 v107, v203, v133
	v_add_f16_e32 v24, v25, v24
	v_add_f16_e32 v25, v55, v54
	v_mul_f16_e32 v219, 0xb8d2, v86
	v_fma_f16 v247, v79, s23, v246
	v_add_f16_e32 v101, v107, v101
	v_add_f16_e32 v107, v211, v140
	v_add_f16_e32 v25, v58, v25
	v_mul_f16_e32 v227, 0x39e9, v90
	v_add_f16_e32 v243, v247, v243
	v_mul_f16_e32 v247, 0xba62, v99
	v_add_f16_e32 v101, v107, v101
	v_add_f16_e32 v107, v219, v149
	;; [unrolled: 1-line block ×3, first 2 shown]
	v_fma_f16 v248, v81, s16, v247
	v_add_f16_e32 v101, v107, v101
	v_add_f16_e32 v107, v227, v155
	;; [unrolled: 1-line block ×4, first 2 shown]
	v_mul_f16_e32 v248, 0x3b29, v104
	v_add_f16_e32 v101, v107, v101
	v_accvgpr_read_b32 v107, a9
	v_add_f16_e32 v25, v64, v25
	v_fma_f16 v249, v83, s6, v248
	v_sub_f16_e32 v97, v97, v107
	v_accvgpr_read_b32 v107, a11
	v_add_f16_e32 v25, v65, v25
	v_add_f16_e32 v243, v249, v243
	v_mul_f16_e32 v249, 0xbbb2, v111
	v_add_f16_e32 v97, v54, v97
	v_sub_f16_e32 v102, v102, v107
	v_add_f16_e32 v25, v67, v25
	v_fma_f16 v250, v86, s14, v249
	v_add_f16_e32 v97, v102, v97
	v_accvgpr_read_b32 v102, a13
	v_add_f16_e32 v25, v68, v25
	v_mul_f16_e32 v194, 0x3bb2, v80
	v_add_f16_e32 v243, v250, v243
	v_mul_f16_e32 v250, 0x3bf7, v117
	v_sub_f16_e32 v102, v110, v102
	v_add_f16_e32 v25, v66, v25
	v_fma_f16 v29, v74, s22, v233
	v_mul_f16_e32 v202, 0x3964, v82
	v_fma_f16 v251, v90, s7, v250
	v_add_f16_e32 v97, v102, v97
	v_sub_f16_e32 v102, v118, v194
	v_add_f16_e32 v25, v30, v25
	v_add_f16_e32 v29, v54, v29
	v_fma_f16 v30, v76, s29, v235
	v_mul_f16_e32 v210, 0xb5c8, v84
	v_accvgpr_write_b32 a2, v49
	v_add_f16_e32 v49, v251, v243
	v_mul_f16_e32 v251, 0xbacd, v87
	v_add_f16_e32 v97, v102, v97
	v_sub_f16_e32 v102, v127, v202
	v_add_f16_e32 v29, v30, v29
	v_fma_f16 v30, v78, s28, v236
	v_mul_f16_e32 v218, 0xbbf7, v88
	v_fma_f16 v252, v74, s25, v251
	v_accvgpr_write_b32 a0, v253
	v_mul_f16_e32 v253, 0x3722, v92
	v_add_f16_e32 v97, v102, v97
	v_sub_f16_e32 v102, v134, v210
	v_add_f16_e32 v29, v30, v29
	v_fma_f16 v30, v80, s30, v237
	v_mul_f16_e32 v226, 0xb836, v91
	v_add_f16_e32 v252, v54, v252
	v_fma_f16 v254, v76, s15, v253
	v_add_f16_e32 v97, v102, v97
	v_sub_f16_e32 v102, v142, v218
	v_add_f16_e32 v29, v30, v29
	v_fma_f16 v30, v82, s20, v238
	v_add_f16_e32 v252, v254, v252
	v_mul_f16_e32 v254, 0x2de8, v94
	v_add_f16_e32 v97, v102, v97
	v_sub_f16_e32 v102, v150, v226
	v_add_f16_e32 v29, v30, v29
	v_fma_f16 v30, v84, s36, v239
	v_fma_f16 v255, v78, s34, v254
	v_add_f16_e32 v97, v102, v97
	v_accvgpr_read_b32 v102, a6
	v_add_f16_e32 v29, v30, v29
	v_fma_f16 v30, v88, s18, v240
	v_add_f16_e32 v252, v255, v252
	v_mul_f16_e32 v255, 0xb8d2, v98
	v_add_f16_e32 v95, v102, v95
	v_accvgpr_read_b32 v102, a7
	v_add_f16_e32 v29, v30, v29
	v_fma_f16 v30, v91, s34, v241
	v_mov_b32_e32 v51, v47
	v_fma_f16 v47, v80, s20, v255
	v_add_f16_e32 v95, v28, v95
	v_add_f16_e32 v100, v102, v100
	;; [unrolled: 1-line block ×3, first 2 shown]
	v_fma_f16 v30, v73, s19, -v242
	v_add_f16_e32 v47, v47, v252
	v_mul_f16_e32 v252, 0x3b76, v103
	v_add_f16_e32 v95, v100, v95
	v_accvgpr_read_b32 v100, a8
	v_add_f16_e32 v30, v28, v30
	v_fma_f16 v32, v75, s24, -v244
	v_accvgpr_write_b32 a5, v46
	v_fma_f16 v46, v82, s29, v252
	v_add_f16_e32 v100, v100, v106
	v_add_f16_e32 v30, v32, v30
	v_fma_f16 v32, v77, s21, -v245
	v_add_f16_e32 v46, v46, v47
	v_mul_f16_e32 v47, 0xbbdd, v108
	v_add_f16_e32 v95, v100, v95
	v_accvgpr_read_b32 v100, a10
	v_add_f16_e32 v30, v32, v30
	v_fma_f16 v32, v79, s23, -v246
	v_fma_f16 v234, v84, s33, v47
	v_add_f16_e32 v100, v100, v113
	v_add_f16_e32 v30, v32, v30
	v_fma_f16 v32, v81, s16, -v247
	v_add_f16_e32 v46, v234, v46
	v_mul_f16_e32 v234, 0x39e9, v116
	v_add_f16_e32 v95, v100, v95
	v_accvgpr_read_b32 v100, a12
	v_add_f16_e32 v30, v32, v30
	v_fma_f16 v32, v83, s6, -v248
	v_mul_f16_e32 v201, 0x3b76, v83
	v_fma_f16 v243, v88, s31, v234
	v_add_f16_e32 v100, v100, v122
	v_add_f16_e32 v30, v32, v30
	v_fma_f16 v32, v86, s14, -v249
	v_mul_f16_e32 v172, 0xbbf7, v74
	v_mul_f16_e32 v217, 0x2de8, v86
	v_add_f16_e32 v46, v243, v46
	v_mul_f16_e32 v243, 0xb461, v124
	v_add_f16_e32 v95, v100, v95
	v_add_f16_e32 v100, v201, v129
	;; [unrolled: 1-line block ×3, first 2 shown]
	v_fma_f16 v32, v90, s7, -v250
	v_mul_f16_e32 v180, 0xb1e1, v76
	v_mul_f16_e32 v225, 0xbacd, v90
	v_fma_f16 v53, v91, s26, v243
	v_sub_f16_e32 v105, v105, v172
	v_add_f16_e32 v95, v100, v95
	v_add_f16_e32 v100, v217, v137
	;; [unrolled: 1-line block ×3, first 2 shown]
	v_fma_f16 v32, v74, s28, v251
	v_mul_f16_e32 v188, 0x3bb2, v78
	v_add_f16_e32 v46, v53, v46
	v_mul_f16_e32 v53, 0xb836, v85
	v_add_f16_e32 v105, v54, v105
	v_sub_f16_e32 v112, v112, v180
	v_add_f16_e32 v95, v100, v95
	v_add_f16_e32 v100, v225, v145
	v_add_f16_e32 v32, v54, v32
	v_fma_f16 v33, v76, s36, v253
	v_mul_f16_e32 v196, 0x35c8, v80
	v_accvgpr_write_b32 a3, v49
	v_accvgpr_write_b32 a4, v46
	v_fma_f16 v46, v73, s21, v53
	v_mul_f16_e32 v49, 0x3b29, v89
	v_add_f16_e32 v105, v112, v105
	v_sub_f16_e32 v112, v120, v188
	v_add_f16_e32 v95, v100, v95
	v_mul_f16_e32 v100, 0x39e9, v87
	v_add_f16_e32 v32, v33, v32
	v_fma_f16 v33, v78, s17, v254
	v_mul_f16_e32 v204, 0xbb29, v82
	v_add_f16_e32 v46, v28, v46
	v_fma_f16 v169, v75, s6, v49
	v_add_f16_e32 v105, v112, v105
	v_sub_f16_e32 v112, v130, v196
	v_fma_f16 v102, v74, s30, v100
	v_mul_f16_e32 v106, 0x2de8, v92
	v_add_f16_e32 v32, v33, v32
	v_fma_f16 v33, v80, s35, v255
	v_mul_f16_e32 v212, 0xb836, v84
	v_add_f16_e32 v46, v169, v46
	v_mul_f16_e32 v169, 0xbbf7, v93
	v_add_f16_e32 v105, v112, v105
	v_sub_f16_e32 v112, v138, v204
	v_add_f16_e32 v102, v54, v102
	v_fma_f16 v107, v76, s34, v106
	v_add_f16_e32 v32, v33, v32
	v_fma_f16 v33, v82, s27, v252
	v_mul_f16_e32 v220, 0x3a62, v88
	v_fma_f16 v177, v77, s7, v169
	v_add_f16_e32 v105, v112, v105
	v_sub_f16_e32 v112, v146, v212
	v_add_f16_e32 v102, v107, v102
	v_mul_f16_e32 v107, 0xb8d2, v94
	v_add_f16_e32 v32, v33, v32
	v_fma_f16 v33, v84, s22, v47
	v_mul_f16_e32 v228, 0x3964, v91
	v_add_f16_e32 v46, v177, v46
	v_mul_f16_e32 v177, 0x3a62, v96
	v_add_f16_e32 v105, v112, v105
	v_sub_f16_e32 v112, v153, v220
	v_fma_f16 v110, v78, s35, v107
	v_add_f16_e32 v32, v33, v32
	v_fma_f16 v33, v88, s30, v234
	v_mul_f16_e32 v173, 0xb461, v73
	v_fma_f16 v50, v79, s16, v177
	v_add_f16_e32 v105, v112, v105
	v_sub_f16_e32 v112, v159, v228
	v_add_f16_e32 v102, v110, v102
	v_mul_f16_e32 v110, 0xbbdd, v98
	v_add_f16_e32 v32, v33, v32
	v_fma_f16 v33, v91, s18, v243
	v_mul_f16_e32 v181, 0xbacd, v75
	v_add_f16_e32 v46, v50, v46
	v_mul_f16_e32 v50, 0xb5c8, v99
	v_add_f16_e32 v109, v173, v109
	v_add_f16_e32 v105, v112, v105
	v_fma_f16 v112, v80, s33, v110
	v_add_f16_e32 v32, v33, v32
	v_fma_f16 v33, v73, s21, -v53
	v_mul_f16_e32 v189, 0x39e9, v77
	v_fma_f16 v185, v81, s24, v50
	v_add_f16_e32 v109, v28, v109
	v_add_f16_e32 v119, v181, v119
	;; [unrolled: 1-line block ×3, first 2 shown]
	v_mul_f16_e32 v112, 0xbacd, v103
	v_add_f16_e32 v33, v28, v33
	v_fma_f16 v34, v75, s6, -v49
	v_mul_f16_e32 v174, 0xbbb2, v74
	v_mul_f16_e32 v197, 0x3722, v79
	v_add_f16_e32 v46, v185, v46
	v_mul_f16_e32 v185, 0xb1e1, v104
	v_add_f16_e32 v109, v119, v109
	v_add_f16_e32 v119, v189, v128
	v_fma_f16 v113, v82, s28, v112
	v_add_f16_e32 v33, v34, v33
	v_fma_f16 v34, v77, s7, -v169
	v_mul_f16_e32 v182, 0x3836, v76
	v_mul_f16_e32 v205, 0xbbdd, v81
	v_accvgpr_write_b32 a1, v170
	v_fma_f16 v170, v83, s19, v185
	v_sub_f16_e32 v114, v114, v174
	v_add_f16_e32 v109, v119, v109
	v_add_f16_e32 v119, v197, v136
	v_add_f16_e32 v102, v113, v102
	v_mul_f16_e32 v113, 0xb461, v108
	v_add_f16_e32 v33, v34, v33
	v_fma_f16 v34, v79, s16, -v177
	v_mul_f16_e32 v190, 0x3964, v78
	v_mul_f16_e32 v213, 0x2de8, v83
	v_add_f16_e32 v46, v170, v46
	v_mul_f16_e32 v170, 0x3964, v111
	v_add_f16_e32 v114, v54, v114
	v_sub_f16_e32 v123, v123, v182
	v_add_f16_e32 v109, v119, v109
	v_add_f16_e32 v119, v205, v143
	v_fma_f16 v115, v84, s18, v113
	v_add_f16_e32 v33, v34, v33
	v_fma_f16 v34, v81, s24, -v50
	v_mul_f16_e32 v198, 0xbb29, v80
	v_mul_f16_e32 v221, 0x3b76, v86
	v_fma_f16 v193, v86, s23, v170
	v_add_f16_e32 v114, v123, v114
	v_sub_f16_e32 v123, v132, v190
	v_add_f16_e32 v109, v119, v109
	v_add_f16_e32 v119, v213, v151
	v_add_f16_e32 v102, v115, v102
	v_mul_f16_e32 v115, 0x3722, v116
	v_add_f16_e32 v33, v34, v33
	v_fma_f16 v34, v83, s19, -v185
	v_mul_f16_e32 v206, 0xb1e1, v82
	v_mul_f16_e32 v229, 0xb8d2, v90
	v_add_f16_e32 v46, v193, v46
	v_mul_f16_e32 v193, 0xbbb2, v117
	v_add_f16_e32 v114, v123, v114
	v_sub_f16_e32 v123, v141, v198
	v_add_f16_e32 v109, v119, v109
	v_add_f16_e32 v119, v221, v157
	v_fma_f16 v118, v88, s15, v115
	v_add_f16_e32 v33, v34, v33
	v_fma_f16 v34, v86, s23, -v170
	v_mul_f16_e32 v214, 0x3bf7, v84
	v_add_f16_e32 v114, v123, v114
	v_sub_f16_e32 v123, v148, v206
	v_add_f16_e32 v109, v119, v109
	v_add_f16_e32 v119, v229, v162
	;; [unrolled: 1-line block ×3, first 2 shown]
	v_mul_f16_e32 v118, 0x3b76, v124
	v_add_f16_e32 v33, v34, v33
	v_fma_f16 v34, v90, s14, -v193
	v_mul_f16_e32 v222, 0xb5c8, v88
	v_add_f16_e32 v114, v123, v114
	v_sub_f16_e32 v123, v156, v214
	v_add_f16_e32 v109, v119, v109
	v_fma_f16 v119, v91, s27, v118
	v_add_f16_e32 v33, v34, v33
	v_fma_f16 v34, v74, s31, v100
	v_mul_f16_e32 v230, 0xba62, v91
	v_add_f16_e32 v114, v123, v114
	v_sub_f16_e32 v123, v161, v222
	v_add_f16_e32 v102, v119, v102
	v_mul_f16_e32 v119, 0xb964, v85
	v_add_f16_e32 v34, v54, v34
	v_fma_f16 v35, v76, s17, v106
	v_add_f16_e32 v114, v123, v114
	v_sub_f16_e32 v123, v165, v230
	v_fma_f16 v120, v73, s23, v119
	v_mul_f16_e32 v122, 0xbbf7, v89
	v_add_f16_e32 v34, v35, v34
	v_fma_f16 v35, v78, s20, v107
	v_add_f16_e32 v114, v123, v114
	v_add_f16_e32 v120, v28, v120
	v_fma_f16 v123, v75, s7, v122
	v_add_f16_e32 v34, v35, v34
	v_fma_f16 v35, v80, s22, v110
	v_add_f16_e32 v120, v123, v120
	v_mul_f16_e32 v123, 0xba62, v93
	v_add_f16_e32 v34, v35, v34
	v_fma_f16 v35, v82, s25, v112
	v_fma_f16 v125, v77, s16, v123
	v_add_f16_e32 v34, v35, v34
	v_fma_f16 v35, v84, s26, v113
	v_mul_f16_e32 v175, 0xb8d2, v73
	v_add_f16_e32 v120, v125, v120
	v_mul_f16_e32 v125, 0xb1e1, v96
	v_add_f16_e32 v34, v35, v34
	v_fma_f16 v35, v88, s36, v115
	v_mul_f16_e32 v183, 0xb461, v75
	v_add_f16_e32 v121, v175, v121
	v_fma_f16 v127, v79, s19, v125
	v_add_f16_e32 v34, v35, v34
	v_fma_f16 v35, v91, s29, v118
	v_mul_f16_e32 v191, 0x3b76, v77
	v_add_f16_e32 v121, v28, v121
	v_add_f16_e32 v131, v183, v131
	v_add_f16_e32 v120, v127, v120
	v_mul_f16_e32 v127, 0x3836, v99
	v_add_f16_e32 v34, v35, v34
	v_fma_f16 v35, v73, s23, -v119
	v_mul_f16_e32 v199, 0xbacd, v79
	v_add_f16_e32 v121, v131, v121
	v_add_f16_e32 v131, v191, v139
	v_fma_f16 v128, v81, s21, v127
	v_add_f16_e32 v35, v28, v35
	v_fma_f16 v38, v75, s7, -v122
	v_mul_f16_e32 v207, 0x2de8, v81
	v_add_f16_e32 v121, v131, v121
	v_add_f16_e32 v131, v199, v147
	v_add_f16_e32 v120, v128, v120
	v_mul_f16_e32 v128, 0x3bb2, v104
	v_add_f16_e32 v35, v38, v35
	v_fma_f16 v38, v77, s16, -v123
	v_mul_f16_e32 v215, 0x39e9, v83
	v_add_f16_e32 v121, v131, v121
	v_add_f16_e32 v131, v207, v154
	v_fma_f16 v129, v83, s14, v128
	v_add_f16_e32 v35, v38, v35
	v_fma_f16 v38, v79, s19, -v125
	;; [unrolled: 13-line block ×3, first 2 shown]
	v_add_f16_e32 v121, v131, v121
	v_add_f16_e32 v131, v231, v167
	;; [unrolled: 1-line block ×3, first 2 shown]
	v_mul_f16_e32 v130, 0x35c8, v117
	v_add_f16_e32 v35, v38, v35
	v_fma_f16 v38, v86, s6, -v129
	v_add_f16_e32 v121, v131, v121
	v_fma_f16 v131, v90, s24, v130
	v_mul_f16_e32 v87, 0x3b76, v87
	v_add_f16_e32 v35, v38, v35
	v_fma_f16 v38, v90, s24, -v130
	v_add_f16_e32 v120, v131, v120
	v_fma_f16 v131, v74, s29, v87
	v_mul_f16_e32 v92, 0x39e9, v92
	v_add_f16_e32 v35, v38, v35
	v_fma_f16 v38, v74, s27, v87
	v_add_f16_e32 v131, v54, v131
	v_fma_f16 v132, v76, s30, v92
	v_mul_f16_e32 v94, 0x3722, v94
	v_add_f16_e32 v38, v54, v38
	v_fma_f16 v39, v76, s31, v92
	;; [unrolled: 5-line block ×8, first 2 shown]
	v_add_f16_e32 v131, v132, v131
	v_fma_f16 v132, v73, s24, v85
	v_mul_f16_e32 v89, 0xb964, v89
	v_add_f16_e32 v38, v39, v38
	v_fma_f16 v39, v73, s24, -v85
	v_add_f16_e32 v132, v28, v132
	v_fma_f16 v133, v75, s23, v89
	v_mul_f16_e32 v93, 0xbb29, v93
	v_add_f16_e32 v28, v28, v39
	v_fma_f16 v39, v75, s23, -v89
	;; [unrolled: 5-line block ×3, first 2 shown]
	v_mul_f16_e32 v176, 0xba62, v74
	v_add_f16_e32 v132, v133, v132
	v_fma_f16 v133, v79, s7, v96
	v_mul_f16_e32 v99, 0xbbb2, v99
	v_add_f16_e32 v25, v69, v25
	v_add_f16_e32 v28, v39, v28
	v_fma_f16 v39, v79, s7, -v96
	v_mul_f16_e32 v184, 0x3bb2, v76
	v_sub_f16_e32 v126, v126, v176
	v_add_f16_e32 v132, v133, v132
	v_fma_f16 v133, v81, s14, v99
	v_mul_f16_e32 v104, 0xba62, v104
	v_add_f16_e32 v25, v71, v25
	v_add_f16_e32 v28, v39, v28
	v_fma_f16 v39, v81, s14, -v99
	v_mul_f16_e32 v192, 0xb5c8, v78
	v_add_f16_e32 v126, v54, v126
	v_sub_f16_e32 v135, v135, v184
	v_add_f16_e32 v132, v133, v132
	v_fma_f16 v133, v83, s16, v104
	v_mul_f16_e32 v111, 0xb836, v111
	v_add_f16_e32 v25, v72, v25
	v_add_f16_e32 v28, v39, v28
	v_fma_f16 v39, v83, s16, -v104
	v_mul_f16_e32 v200, 0xb836, v80
	v_add_f16_e32 v126, v135, v126
	;; [unrolled: 9-line block ×3, first 2 shown]
	v_sub_f16_e32 v135, v152, v200
	v_add_f16_e32 v132, v133, v132
	v_fma_f16 v133, v90, s19, v117
	v_add_f16_e32 v25, v186, v25
	v_add_f16_e32 v28, v39, v28
	v_fma_f16 v39, v90, s19, -v117
	v_mul_f16_e32 v216, 0xb964, v84
	v_add_f16_e32 v126, v135, v126
	v_sub_f16_e32 v135, v158, v208
	v_add_f16_e32 v132, v133, v132
	v_add_f16_e32 v24, v209, v24
	;; [unrolled: 1-line block ×4, first 2 shown]
	v_mul_lo_u16_e32 v39, 17, v20
	v_accvgpr_read_b32 v40, a5
	v_mul_f16_e32 v224, 0xb1e1, v88
	v_add_f16_e32 v126, v135, v126
	v_sub_f16_e32 v135, v163, v216
	v_lshl_add_u32 v39, v39, 2, v40
	v_pack_b32_f16 v40, v132, v131
	v_pack_b32_f16 v24, v24, v25
	v_mul_f16_e32 v232, 0x3b29, v91
	v_add_f16_e32 v126, v135, v126
	v_sub_f16_e32 v135, v166, v224
	ds_write2_b32 v39, v24, v40 offset1:1
	v_pack_b32_f16 v24, v95, v97
	v_pack_b32_f16 v25, v120, v102
	v_fma_f16 v178, v90, s14, v193
	v_add_f16_e32 v126, v135, v126
	v_sub_f16_e32 v135, v168, v232
	ds_write2_b32 v39, v25, v24 offset0:2 offset1:3
	v_pack_b32_f16 v24, v109, v114
	v_pack_b32_f16 v25, v101, v105
	v_add_f16_e32 v46, v178, v46
	v_add_f16_e32 v126, v135, v126
	ds_write2_b32 v39, v25, v24 offset0:4 offset1:5
	v_accvgpr_read_b32 v25, a4
	v_pack_b32_f16 v24, v121, v126
	v_pack_b32_f16 v25, v46, v25
	ds_write2_b32 v39, v24, v25 offset0:6 offset1:7
	v_pack_b32_f16 v24, v30, v29
	v_accvgpr_read_b32 v25, a2
	v_accvgpr_read_b32 v29, a3
	v_pack_b32_f16 v25, v29, v25
	s_mov_b32 s6, 0x5040100
	ds_write2_b32 v39, v25, v24 offset0:8 offset1:9
	v_pack_b32_f16 v24, v33, v32
	v_perm_b32 v25, v62, v31, s6
	ds_write2_b32 v39, v24, v25 offset0:10 offset1:11
	v_perm_b32 v24, v61, v37, s6
	v_perm_b32 v25, v63, v36, s6
	ds_write2_b32 v39, v25, v24 offset0:12 offset1:13
	v_pack_b32_f16 v24, v35, v34
	v_perm_b32 v25, v60, v57, s6
	v_accvgpr_read_b32 v253, a0
	v_accvgpr_read_b32 v170, a1
	ds_write2_b32 v39, v25, v24 offset0:14 offset1:15
	v_pack_b32_f16 v24, v28, v38
	ds_write_b32 v39, v24 offset:64
.LBB0_17:
	s_or_b64 exec, exec, s[4:5]
	s_waitcnt lgkmcnt(0)
	s_barrier
	ds_read2_b32 v[24:25], v48 offset1:85
	ds_read2_b32 v[32:33], v48 offset0:170 offset1:255
	v_add_u32_e32 v42, 0x400, v48
	ds_read2_b32 v[34:35], v42 offset0:84 offset1:169
	v_add_u32_e32 v28, 0x600, v48
	s_waitcnt lgkmcnt(2)
	v_lshrrev_b32_e32 v29, 16, v25
	ds_read2_b32 v[38:39], v28 offset0:126 offset1:211
	v_mul_f16_sdwa v54, v4, v29 dst_sel:DWORD dst_unused:UNUSED_PAD src0_sel:WORD_1 src1_sel:DWORD
	s_waitcnt lgkmcnt(2)
	v_lshrrev_b32_e32 v30, 16, v32
	v_add_u32_e32 v28, 0x800, v48
	v_fma_f16 v54, v4, v25, v54
	v_mul_f16_sdwa v25, v4, v25 dst_sel:DWORD dst_unused:UNUSED_PAD src0_sel:WORD_1 src1_sel:DWORD
	v_lshrrev_b32_e32 v43, 16, v33
	ds_read2_b32 v[40:41], v28 offset0:168 offset1:253
	v_fma_f16 v4, v4, v29, -v25
	v_mul_f16_sdwa v25, v5, v30 dst_sel:DWORD dst_unused:UNUSED_PAD src0_sel:WORD_1 src1_sel:DWORD
	v_mul_f16_sdwa v29, v5, v32 dst_sel:DWORD dst_unused:UNUSED_PAD src0_sel:WORD_1 src1_sel:DWORD
	s_waitcnt lgkmcnt(2)
	v_lshrrev_b32_e32 v44, 16, v34
	v_fma_f16 v25, v5, v32, v25
	v_fma_f16 v5, v5, v30, -v29
	v_mul_f16_sdwa v29, v6, v43 dst_sel:DWORD dst_unused:UNUSED_PAD src0_sel:WORD_1 src1_sel:DWORD
	v_mul_f16_sdwa v30, v6, v33 dst_sel:DWORD dst_unused:UNUSED_PAD src0_sel:WORD_1 src1_sel:DWORD
	v_lshrrev_b32_e32 v45, 16, v35
	ds_read_b32 v46, v48 offset:3400
	v_fma_f16 v29, v6, v33, v29
	v_fma_f16 v6, v6, v43, -v30
	v_mul_f16_sdwa v30, v7, v44 dst_sel:DWORD dst_unused:UNUSED_PAD src0_sel:WORD_1 src1_sel:DWORD
	v_mul_f16_sdwa v32, v7, v34 dst_sel:DWORD dst_unused:UNUSED_PAD src0_sel:WORD_1 src1_sel:DWORD
	s_waitcnt lgkmcnt(2)
	v_lshrrev_b32_e32 v47, 16, v38
	v_fma_f16 v30, v7, v34, v30
	v_fma_f16 v7, v7, v44, -v32
	v_mul_f16_sdwa v32, v8, v45 dst_sel:DWORD dst_unused:UNUSED_PAD src0_sel:WORD_1 src1_sel:DWORD
	v_mul_f16_sdwa v33, v8, v35 dst_sel:DWORD dst_unused:UNUSED_PAD src0_sel:WORD_1 src1_sel:DWORD
	v_lshrrev_b32_e32 v49, 16, v39
	v_fma_f16 v32, v8, v35, v32
	v_fma_f16 v8, v8, v45, -v33
	v_mul_f16_sdwa v33, v9, v47 dst_sel:DWORD dst_unused:UNUSED_PAD src0_sel:WORD_1 src1_sel:DWORD
	v_mul_f16_sdwa v34, v9, v38 dst_sel:DWORD dst_unused:UNUSED_PAD src0_sel:WORD_1 src1_sel:DWORD
	s_waitcnt lgkmcnt(1)
	v_lshrrev_b32_e32 v50, 16, v40
	v_fma_f16 v33, v9, v38, v33
	v_fma_f16 v9, v9, v47, -v34
	v_mul_f16_sdwa v34, v10, v49 dst_sel:DWORD dst_unused:UNUSED_PAD src0_sel:WORD_1 src1_sel:DWORD
	v_mul_f16_sdwa v35, v10, v39 dst_sel:DWORD dst_unused:UNUSED_PAD src0_sel:WORD_1 src1_sel:DWORD
	v_lshrrev_b32_e32 v51, 16, v41
	v_fma_f16 v34, v10, v39, v34
	v_fma_f16 v10, v10, v49, -v35
	v_mul_f16_sdwa v35, v11, v50 dst_sel:DWORD dst_unused:UNUSED_PAD src0_sel:WORD_1 src1_sel:DWORD
	v_mul_f16_sdwa v38, v11, v40 dst_sel:DWORD dst_unused:UNUSED_PAD src0_sel:WORD_1 src1_sel:DWORD
	s_waitcnt lgkmcnt(0)
	v_lshrrev_b32_e32 v53, 16, v46
	v_fma_f16 v35, v11, v40, v35
	v_fma_f16 v11, v11, v50, -v38
	v_mul_f16_sdwa v38, v26, v51 dst_sel:DWORD dst_unused:UNUSED_PAD src0_sel:WORD_1 src1_sel:DWORD
	v_mul_f16_sdwa v39, v26, v41 dst_sel:DWORD dst_unused:UNUSED_PAD src0_sel:WORD_1 src1_sel:DWORD
	v_fma_f16 v38, v26, v41, v38
	v_fma_f16 v26, v26, v51, -v39
	v_mul_f16_sdwa v39, v27, v53 dst_sel:DWORD dst_unused:UNUSED_PAD src0_sel:WORD_1 src1_sel:DWORD
	v_mul_f16_sdwa v40, v27, v46 dst_sel:DWORD dst_unused:UNUSED_PAD src0_sel:WORD_1 src1_sel:DWORD
	v_fma_f16 v39, v27, v46, v39
	v_fma_f16 v27, v27, v53, -v40
	v_add_f16_e32 v40, v24, v54
	v_add_f16_sdwa v41, v24, v4 dst_sel:DWORD dst_unused:UNUSED_PAD src0_sel:WORD_1 src1_sel:DWORD
	v_add_f16_e32 v40, v40, v25
	v_add_f16_e32 v41, v41, v5
	v_add_f16_e32 v40, v40, v29
	v_add_f16_e32 v41, v41, v6
	v_add_f16_e32 v40, v40, v30
	v_add_f16_e32 v41, v41, v7
	v_add_f16_e32 v40, v40, v32
	v_add_f16_e32 v41, v41, v8
	v_add_f16_e32 v40, v40, v33
	v_add_f16_e32 v41, v41, v9
	v_add_f16_e32 v40, v40, v34
	v_add_f16_e32 v41, v41, v10
	v_add_f16_e32 v40, v40, v35
	v_add_f16_e32 v41, v41, v11
	v_add_f16_e32 v40, v40, v38
	v_add_f16_e32 v41, v41, v26
	v_add_f16_e32 v44, v4, v27
	v_sub_f16_e32 v4, v4, v27
	v_add_f16_e32 v40, v40, v39
	v_add_f16_e32 v41, v41, v27
	;; [unrolled: 1-line block ×3, first 2 shown]
	v_sub_f16_e32 v39, v54, v39
	s_mov_b32 s15, 0xb853
	v_mul_f16_e32 v27, 0xb853, v4
	s_movk_i32 s16, 0x3abb
	v_mul_f16_e32 v46, 0x3abb, v44
	s_movk_i32 s17, 0x3853
	s_mov_b32 s5, 0xbb47
	v_mul_f16_e32 v49, 0xbb47, v4
	s_movk_i32 s6, 0x36a6
	v_mul_f16_e32 v51, 0x36a6, v44
	s_movk_i32 s7, 0x3b47
	s_mov_b32 s4, 0xbbeb
	v_mul_f16_e32 v54, 0xbbeb, v4
	s_mov_b32 s14, 0xb08e
	v_mul_f16_e32 v56, 0xb08e, v44
	s_movk_i32 s18, 0x3beb
	s_mov_b32 s19, 0xba0c
	v_mul_f16_e32 v59, 0xba0c, v4
	s_mov_b32 s20, 0xb93d
	;; [unrolled: 5-line block ×3, first 2 shown]
	v_mul_f16_e32 v44, 0xbbad, v44
	s_movk_i32 s24, 0x3482
	v_fma_f16 v45, v43, s16, v27
	v_fma_f16 v47, v39, s17, v46
	v_fma_f16 v27, v43, s16, -v27
	v_fma_f16 v46, v39, s15, v46
	v_fma_f16 v50, v43, s6, v49
	v_fma_f16 v53, v39, s7, v51
	v_fma_f16 v49, v43, s6, -v49
	v_fma_f16 v51, v39, s5, v51
	;; [unrolled: 4-line block ×5, first 2 shown]
	v_add_f16_e32 v43, v5, v26
	v_sub_f16_e32 v5, v5, v26
	v_add_f16_e32 v45, v24, v45
	v_add_f16_sdwa v47, v24, v47 dst_sel:DWORD dst_unused:UNUSED_PAD src0_sel:WORD_1 src1_sel:DWORD
	v_add_f16_e32 v27, v24, v27
	v_add_f16_sdwa v46, v24, v46 dst_sel:DWORD dst_unused:UNUSED_PAD src0_sel:WORD_1 src1_sel:DWORD
	;; [unrolled: 2-line block ×10, first 2 shown]
	v_add_f16_e32 v39, v25, v38
	v_mul_f16_e32 v26, 0xbb47, v5
	v_sub_f16_e32 v25, v25, v38
	v_fma_f16 v38, v39, s6, v26
	v_mul_f16_e32 v44, 0x36a6, v43
	v_fma_f16 v26, v39, s6, -v26
	v_add_f16_e32 v38, v38, v45
	v_fma_f16 v45, v25, s7, v44
	v_add_f16_e32 v26, v26, v27
	v_fma_f16 v27, v25, s5, v44
	v_mul_f16_e32 v44, 0xba0c, v5
	v_add_f16_e32 v45, v45, v47
	v_add_f16_e32 v27, v27, v46
	v_fma_f16 v46, v39, s20, v44
	v_mul_f16_e32 v47, 0xb93d, v43
	v_fma_f16 v44, v39, s20, -v44
	v_add_f16_e32 v46, v46, v50
	v_fma_f16 v50, v25, s21, v47
	v_add_f16_e32 v44, v44, v49
	v_fma_f16 v47, v25, s19, v47
	v_mul_f16_e32 v49, 0x3482, v5
	v_add_f16_e32 v50, v50, v53
	v_add_f16_e32 v47, v47, v51
	;; [unrolled: 10-line block ×3, first 2 shown]
	v_fma_f16 v56, v39, s14, v54
	v_mul_f16_e32 v58, 0xb08e, v43
	v_fma_f16 v54, v39, s14, -v54
	v_mul_f16_e32 v5, 0x3853, v5
	v_add_f16_e32 v56, v56, v64
	v_fma_f16 v64, v25, s4, v58
	v_add_f16_e32 v54, v54, v59
	v_fma_f16 v58, v25, s18, v58
	v_fma_f16 v59, v39, s16, v5
	v_mul_f16_e32 v43, 0x3abb, v43
	v_fma_f16 v5, v39, s16, -v5
	v_add_f16_e32 v58, v58, v65
	v_fma_f16 v65, v25, s15, v43
	v_add_f16_e32 v4, v5, v4
	v_fma_f16 v5, v25, s17, v43
	v_add_f16_e32 v25, v6, v11
	v_sub_f16_e32 v6, v6, v11
	v_add_f16_e32 v5, v5, v24
	v_add_f16_e32 v24, v29, v35
	v_mul_f16_e32 v11, 0xbbeb, v6
	v_sub_f16_e32 v29, v29, v35
	v_fma_f16 v35, v24, s14, v11
	v_add_f16_e32 v35, v35, v38
	v_mul_f16_e32 v38, 0xb08e, v25
	v_fma_f16 v11, v24, s14, -v11
	v_add_f16_e32 v11, v11, v26
	v_fma_f16 v26, v29, s4, v38
	v_add_f16_e32 v26, v26, v27
	v_mul_f16_e32 v27, 0x3482, v6
	v_fma_f16 v39, v29, s18, v38
	v_fma_f16 v38, v24, s23, v27
	v_fma_f16 v27, v24, s23, -v27
	v_mul_f16_e32 v43, 0xbbad, v25
	v_add_f16_e32 v27, v27, v44
	v_mul_f16_e32 v44, 0x3b47, v6
	v_add_f16_e32 v39, v39, v45
	v_add_f16_e32 v38, v38, v46
	v_fma_f16 v45, v29, s22, v43
	v_fma_f16 v43, v29, s24, v43
	;; [unrolled: 1-line block ×3, first 2 shown]
	v_fma_f16 v44, v24, s6, -v44
	v_add_f16_e32 v43, v43, v47
	v_mul_f16_e32 v47, 0x36a6, v25
	v_add_f16_e32 v44, v44, v49
	v_mul_f16_e32 v49, 0xb853, v6
	v_add_f16_e32 v45, v45, v50
	v_add_f16_e32 v46, v46, v51
	v_fma_f16 v50, v29, s5, v47
	v_fma_f16 v47, v29, s7, v47
	;; [unrolled: 1-line block ×3, first 2 shown]
	v_fma_f16 v49, v24, s16, -v49
	v_mul_f16_e32 v6, 0xba0c, v6
	v_add_f16_e32 v47, v47, v53
	v_mul_f16_e32 v53, 0x3abb, v25
	v_add_f16_e32 v49, v49, v54
	v_fma_f16 v54, v24, s20, v6
	v_mul_f16_e32 v25, 0xb93d, v25
	v_fma_f16 v6, v24, s20, -v6
	v_add_f16_e32 v4, v6, v4
	v_fma_f16 v6, v29, s19, v25
	v_add_f16_e32 v24, v7, v10
	v_sub_f16_e32 v7, v7, v10
	v_add_f16_e32 v5, v6, v5
	v_add_f16_e32 v6, v30, v34
	v_mul_f16_e32 v10, 0xba0c, v7
	v_add_f16_e32 v50, v50, v55
	v_add_f16_e32 v51, v51, v56
	v_fma_f16 v55, v29, s17, v53
	v_fma_f16 v53, v29, s15, v53
	;; [unrolled: 1-line block ×3, first 2 shown]
	v_sub_f16_e32 v25, v30, v34
	v_fma_f16 v29, v6, s20, v10
	v_mul_f16_e32 v30, 0xb93d, v24
	v_fma_f16 v10, v6, s20, -v10
	v_add_f16_e32 v10, v10, v11
	v_fma_f16 v11, v25, s19, v30
	v_add_f16_e32 v11, v11, v26
	v_mul_f16_e32 v26, 0x3beb, v7
	v_fma_f16 v34, v25, s21, v30
	v_fma_f16 v30, v6, s14, v26
	v_add_f16_e32 v29, v29, v35
	v_add_f16_e32 v35, v30, v38
	v_mul_f16_e32 v30, 0xb08e, v24
	v_fma_f16 v26, v6, s14, -v26
	v_add_f16_e32 v27, v26, v27
	v_fma_f16 v26, v25, s18, v30
	v_add_f16_e32 v34, v34, v39
	v_add_f16_e32 v39, v26, v43
	v_mul_f16_e32 v26, 0xb853, v7
	v_fma_f16 v38, v25, s4, v30
	v_fma_f16 v30, v6, s16, v26
	v_add_f16_e32 v43, v30, v46
	v_mul_f16_e32 v30, 0x3abb, v24
	v_fma_f16 v26, v6, s16, -v26
	v_add_f16_e32 v44, v26, v44
	v_fma_f16 v26, v25, s15, v30
	v_add_f16_e32 v46, v26, v47
	v_mul_f16_e32 v26, 0xb482, v7
	v_add_f16_e32 v38, v38, v45
	v_fma_f16 v45, v25, s17, v30
	v_fma_f16 v30, v6, s23, v26
	v_add_f16_e32 v47, v30, v51
	v_mul_f16_e32 v30, 0xbbad, v24
	v_fma_f16 v26, v6, s23, -v26
	v_add_f16_e32 v53, v53, v58
	v_add_f16_e32 v49, v26, v49
	v_fma_f16 v26, v25, s22, v30
	v_mul_f16_e32 v7, 0x3b47, v7
	v_add_f16_e32 v59, v59, v67
	v_add_f16_e32 v51, v26, v53
	v_fma_f16 v26, v6, s6, v7
	v_mul_f16_e32 v24, 0x36a6, v24
	v_fma_f16 v6, v6, s6, -v7
	v_add_f16_e32 v65, v65, v68
	v_add_f16_e32 v54, v54, v59
	;; [unrolled: 1-line block ×3, first 2 shown]
	v_fma_f16 v6, v25, s7, v24
	v_add_f16_e32 v7, v8, v9
	v_sub_f16_e32 v8, v8, v9
	v_add_f16_e32 v56, v56, v65
	v_add_f16_e32 v53, v26, v54
	v_fma_f16 v26, v25, s5, v24
	v_add_f16_e32 v5, v6, v5
	v_add_f16_e32 v6, v32, v33
	v_mul_f16_e32 v9, 0xb482, v8
	v_add_f16_e32 v45, v45, v50
	v_fma_f16 v50, v25, s24, v30
	v_add_f16_e32 v54, v26, v56
	v_sub_f16_e32 v24, v32, v33
	v_fma_f16 v25, v6, s23, v9
	v_mul_f16_e32 v26, 0xbbad, v7
	v_fma_f16 v9, v6, s23, -v9
	v_add_f16_e32 v30, v9, v10
	v_fma_f16 v9, v24, s22, v26
	v_add_f16_e32 v25, v25, v29
	v_fma_f16 v29, v24, s24, v26
	v_add_f16_e32 v26, v9, v11
	v_mul_f16_e32 v9, 0x3853, v8
	v_fma_f16 v10, v6, s16, v9
	v_mul_f16_e32 v11, 0x3abb, v7
	v_fma_f16 v9, v6, s16, -v9
	v_add_f16_e32 v29, v29, v34
	v_fma_f16 v32, v24, s15, v11
	v_add_f16_e32 v9, v9, v27
	v_mul_f16_e32 v27, 0xba0c, v8
	v_mul_f16_e32 v34, 0xb93d, v7
	v_add_f16_e32 v10, v10, v35
	v_add_f16_e32 v32, v32, v38
	v_fma_f16 v11, v24, s17, v11
	v_fma_f16 v33, v6, s20, v27
	;; [unrolled: 1-line block ×3, first 2 shown]
	v_mul_f16_e32 v38, 0x3b47, v8
	v_mul_f16_e32 v8, 0xbbeb, v8
	v_add_f16_e32 v11, v11, v39
	v_add_f16_e32 v33, v33, v43
	;; [unrolled: 1-line block ×3, first 2 shown]
	v_fma_f16 v27, v6, s20, -v27
	v_fma_f16 v39, v6, s6, v38
	v_mul_f16_e32 v43, 0x36a6, v7
	v_fma_f16 v38, v6, s6, -v38
	v_fma_f16 v45, v6, s14, v8
	v_mul_f16_e32 v7, 0xb08e, v7
	v_fma_f16 v6, v6, s14, -v8
	v_add_f16_e32 v64, v64, v66
	v_add_f16_e32 v27, v27, v44
	v_fma_f16 v44, v24, s5, v43
	v_fma_f16 v43, v24, s7, v43
	v_add_f16_e32 v4, v6, v4
	v_fma_f16 v6, v24, s4, v7
	v_add_f16_e32 v55, v55, v64
	;; [unrolled: 2-line block ×3, first 2 shown]
	v_add_f16_e32 v43, v43, v51
	v_add_f16_e32 v5, v6, v5
	;; [unrolled: 1-line block ×4, first 2 shown]
	v_fma_f16 v46, v24, s18, v7
	v_pack_b32_f16 v6, v40, v41
	v_pack_b32_f16 v7, v25, v29
	;; [unrolled: 1-line block ×4, first 2 shown]
	v_add_f16_e32 v39, v39, v47
	v_add_f16_e32 v44, v44, v50
	;; [unrolled: 1-line block ×4, first 2 shown]
	s_barrier
	ds_write2_b32 v52, v6, v7 offset1:17
	v_pack_b32_f16 v6, v10, v32
	v_pack_b32_f16 v7, v33, v35
	ds_write2_b32 v52, v4, v5 offset0:102 offset1:119
	v_pack_b32_f16 v4, v27, v34
	v_pack_b32_f16 v5, v9, v11
	ds_write2_b32 v52, v6, v7 offset0:34 offset1:51
	;; [unrolled: 3-line block ×3, first 2 shown]
	v_pack_b32_f16 v4, v30, v26
	v_add_u32_e32 v29, 0x200, v48
	ds_write2_b32 v52, v6, v7 offset0:68 offset1:85
	ds_write_b32 v52, v4 offset:680
	s_waitcnt lgkmcnt(0)
	s_barrier
	ds_read2_b32 v[4:5], v48 offset1:85
	ds_read2_b32 v[24:25], v29 offset0:59 offset1:144
	ds_read2_b32 v[10:11], v42 offset0:118 offset1:203
	;; [unrolled: 1-line block ×3, first 2 shown]
	v_add_u32_e32 v8, 0xa00, v48
	ds_read2_b32 v[8:9], v8 offset0:108 offset1:193
	v_add_u32_e32 v27, 0x154, v170
	s_and_saveexec_b64 s[4:5], s[0:1]
	s_cbranch_execz .LBB0_19
; %bb.18:
	ds_read2_b32 v[30:31], v29 offset0:42 offset1:229
	ds_read2_b32 v[36:37], v28 offset0:32 offset1:219
	ds_read_b32 v57, v48 offset:3672
	s_waitcnt lgkmcnt(2)
	v_lshrrev_b32_e32 v26, 16, v30
	v_lshrrev_b32_e32 v62, 16, v31
	s_waitcnt lgkmcnt(1)
	v_lshrrev_b32_e32 v63, 16, v36
	v_lshrrev_b32_e32 v61, 16, v37
	s_waitcnt lgkmcnt(0)
	v_lshrrev_b32_e32 v60, 16, v57
.LBB0_19:
	s_or_b64 exec, exec, s[4:5]
	s_waitcnt lgkmcnt(3)
	v_lshrrev_b32_e32 v29, 16, v24
	v_mul_f16_sdwa v42, v12, v29 dst_sel:DWORD dst_unused:UNUSED_PAD src0_sel:WORD_1 src1_sel:DWORD
	s_waitcnt lgkmcnt(2)
	v_lshrrev_b32_e32 v32, 16, v10
	v_fma_f16 v42, v12, v24, v42
	v_mul_f16_sdwa v24, v12, v24 dst_sel:DWORD dst_unused:UNUSED_PAD src0_sel:WORD_1 src1_sel:DWORD
	v_fma_f16 v12, v12, v29, -v24
	v_mul_f16_sdwa v24, v13, v32 dst_sel:DWORD dst_unused:UNUSED_PAD src0_sel:WORD_1 src1_sel:DWORD
	s_waitcnt lgkmcnt(1)
	v_lshrrev_b32_e32 v33, 16, v6
	v_fma_f16 v24, v13, v10, v24
	v_mul_f16_sdwa v10, v13, v10 dst_sel:DWORD dst_unused:UNUSED_PAD src0_sel:WORD_1 src1_sel:DWORD
	v_fma_f16 v10, v13, v32, -v10
	;; [unrolled: 6-line block ×3, first 2 shown]
	v_mul_f16_sdwa v14, v15, v34 dst_sel:DWORD dst_unused:UNUSED_PAD src0_sel:WORD_1 src1_sel:DWORD
	v_lshrrev_b32_e32 v38, 16, v25
	v_fma_f16 v14, v15, v8, v14
	v_mul_f16_sdwa v8, v15, v8 dst_sel:DWORD dst_unused:UNUSED_PAD src0_sel:WORD_1 src1_sel:DWORD
	v_fma_f16 v8, v15, v34, -v8
	v_mul_f16_sdwa v15, v16, v38 dst_sel:DWORD dst_unused:UNUSED_PAD src0_sel:WORD_1 src1_sel:DWORD
	v_lshrrev_b32_e32 v39, 16, v11
	v_fma_f16 v15, v16, v25, v15
	v_mul_f16_sdwa v25, v16, v25 dst_sel:DWORD dst_unused:UNUSED_PAD src0_sel:WORD_1 src1_sel:DWORD
	v_fma_f16 v16, v16, v38, -v25
	;; [unrolled: 5-line block ×3, first 2 shown]
	v_mul_f16_sdwa v17, v18, v40 dst_sel:DWORD dst_unused:UNUSED_PAD src0_sel:WORD_1 src1_sel:DWORD
	v_add_f16_e32 v29, v24, v13
	v_lshrrev_b32_e32 v41, 16, v9
	v_fma_f16 v17, v18, v7, v17
	v_mul_f16_sdwa v7, v18, v7 dst_sel:DWORD dst_unused:UNUSED_PAD src0_sel:WORD_1 src1_sel:DWORD
	v_fma_f16 v29, v29, -0.5, v4
	v_sub_f16_e32 v32, v12, v8
	s_mov_b32 s6, 0xbb9c
	s_movk_i32 s15, 0x3b9c
	v_fma_f16 v7, v18, v40, -v7
	v_mul_f16_sdwa v18, v19, v41 dst_sel:DWORD dst_unused:UNUSED_PAD src0_sel:WORD_1 src1_sel:DWORD
	v_fma_f16 v33, v32, s6, v29
	v_sub_f16_e32 v34, v10, v6
	s_mov_b32 s7, 0xb8b4
	v_sub_f16_e32 v38, v42, v24
	v_sub_f16_e32 v39, v14, v13
	v_fma_f16 v29, v32, s15, v29
	s_movk_i32 s16, 0x38b4
	v_fma_f16 v18, v19, v9, v18
	v_mul_f16_sdwa v9, v19, v9 dst_sel:DWORD dst_unused:UNUSED_PAD src0_sel:WORD_1 src1_sel:DWORD
	v_fma_f16 v33, v34, s7, v33
	v_add_f16_e32 v38, v38, v39
	s_movk_i32 s14, 0x34f2
	v_fma_f16 v29, v34, s16, v29
	v_fma_f16 v9, v19, v41, -v9
	v_add_f16_e32 v19, v4, v42
	v_fma_f16 v33, v38, s14, v33
	v_fma_f16 v29, v38, s14, v29
	v_add_f16_e32 v38, v42, v14
	v_lshrrev_b32_e32 v28, 16, v4
	v_add_f16_e32 v19, v19, v24
	v_fma_f16 v4, v38, -0.5, v4
	v_add_f16_e32 v19, v19, v13
	v_fma_f16 v38, v34, s15, v4
	v_sub_f16_e32 v39, v24, v42
	v_sub_f16_e32 v40, v13, v14
	v_fma_f16 v4, v34, s6, v4
	v_add_f16_e32 v34, v10, v6
	v_add_f16_e32 v19, v19, v14
	v_fma_f16 v38, v32, s7, v38
	v_add_f16_e32 v39, v39, v40
	v_fma_f16 v4, v32, s16, v4
	v_fma_f16 v34, v34, -0.5, v28
	v_sub_f16_e32 v14, v42, v14
	v_fma_f16 v38, v39, s14, v38
	v_fma_f16 v4, v39, s14, v4
	;; [unrolled: 1-line block ×3, first 2 shown]
	v_sub_f16_e32 v13, v24, v13
	v_fma_f16 v24, v13, s16, v39
	v_sub_f16_e32 v39, v12, v10
	v_sub_f16_e32 v40, v8, v6
	v_fma_f16 v34, v14, s6, v34
	v_add_f16_e32 v39, v39, v40
	v_fma_f16 v34, v13, s7, v34
	v_add_f16_e32 v32, v28, v12
	v_fma_f16 v24, v39, s14, v24
	v_fma_f16 v34, v39, s14, v34
	v_add_f16_e32 v39, v12, v8
	v_add_f16_e32 v32, v32, v10
	v_fma_f16 v28, v39, -0.5, v28
	v_add_f16_e32 v32, v32, v6
	v_fma_f16 v39, v13, s6, v28
	v_sub_f16_e32 v10, v10, v12
	v_sub_f16_e32 v6, v6, v8
	v_add_f16_e32 v12, v25, v17
	v_fma_f16 v39, v14, s16, v39
	v_add_f16_e32 v6, v10, v6
	v_fma_f16 v10, v13, s15, v28
	v_fma_f16 v12, v12, -0.5, v5
	v_sub_f16_e32 v13, v16, v9
	v_add_f16_e32 v32, v32, v8
	v_fma_f16 v8, v6, s14, v39
	v_fma_f16 v10, v14, s7, v10
	;; [unrolled: 1-line block ×3, first 2 shown]
	v_sub_f16_e32 v28, v11, v7
	v_sub_f16_e32 v39, v15, v25
	;; [unrolled: 1-line block ×3, first 2 shown]
	v_fma_f16 v12, v13, s15, v12
	v_fma_f16 v14, v28, s7, v14
	v_add_f16_e32 v39, v39, v40
	v_fma_f16 v12, v28, s16, v12
	v_fma_f16 v14, v39, s14, v14
	v_fma_f16 v12, v39, s14, v12
	v_add_f16_e32 v39, v15, v18
	v_lshrrev_b32_e32 v35, 16, v5
	v_fma_f16 v6, v6, s14, v10
	v_add_f16_e32 v10, v5, v15
	v_fma_f16 v5, v39, -0.5, v5
	v_add_f16_e32 v10, v10, v25
	v_fma_f16 v39, v28, s15, v5
	v_sub_f16_e32 v40, v25, v15
	v_sub_f16_e32 v41, v17, v18
	v_fma_f16 v5, v28, s6, v5
	v_add_f16_e32 v28, v11, v7
	v_add_f16_e32 v10, v10, v17
	v_fma_f16 v39, v13, s7, v39
	v_add_f16_e32 v40, v40, v41
	v_fma_f16 v5, v13, s16, v5
	v_fma_f16 v28, v28, -0.5, v35
	v_sub_f16_e32 v15, v15, v18
	v_add_f16_e32 v10, v10, v18
	v_fma_f16 v39, v40, s14, v39
	v_fma_f16 v5, v40, s14, v5
	;; [unrolled: 1-line block ×3, first 2 shown]
	v_sub_f16_e32 v17, v25, v17
	v_sub_f16_e32 v25, v16, v11
	;; [unrolled: 1-line block ×3, first 2 shown]
	v_fma_f16 v28, v15, s6, v28
	v_add_f16_e32 v13, v35, v16
	v_fma_f16 v18, v17, s16, v18
	v_add_f16_e32 v25, v25, v40
	;; [unrolled: 2-line block ×3, first 2 shown]
	v_fma_f16 v18, v25, s14, v18
	v_fma_f16 v25, v25, s14, v28
	v_add_f16_e32 v28, v16, v9
	v_add_f16_e32 v13, v13, v7
	v_fma_f16 v28, v28, -0.5, v35
	v_sub_f16_e32 v11, v11, v16
	v_sub_f16_e32 v7, v7, v9
	v_fma_f16 v35, v17, s6, v28
	v_add_f16_e32 v7, v11, v7
	v_fma_f16 v11, v17, s15, v28
	v_fma_f16 v35, v15, s16, v35
	;; [unrolled: 1-line block ×3, first 2 shown]
	v_pack_b32_f16 v15, v33, v24
	v_pack_b32_f16 v8, v38, v8
	v_add_u32_e32 v16, 0x200, v21
	v_add_f16_e32 v13, v13, v9
	ds_write2_b32 v16, v15, v8 offset0:59 offset1:246
	v_pack_b32_f16 v4, v4, v6
	v_pack_b32_f16 v6, v29, v34
	v_add_u32_e32 v8, 0x800, v21
	v_fma_f16 v9, v7, s14, v35
	v_fma_f16 v7, v7, s14, v11
	v_pack_b32_f16 v11, v19, v32
	ds_write2_b32 v8, v4, v6 offset0:49 offset1:236
	v_pack_b32_f16 v4, v10, v13
	ds_write2_b32 v21, v11, v4 offset1:85
	v_pack_b32_f16 v4, v14, v18
	v_pack_b32_f16 v6, v39, v9
	v_add_u32_e32 v8, 0x200, v27
	ds_write2_b32 v8, v4, v6 offset0:59 offset1:246
	v_pack_b32_f16 v4, v5, v7
	v_pack_b32_f16 v5, v12, v25
	v_add_u32_e32 v6, 0x800, v27
	ds_write2_b32 v6, v4, v5 offset0:49 offset1:236
	v_lshl_add_u32 v4, v253, 2, v23
	s_and_saveexec_b64 s[4:5], s[0:1]
	s_cbranch_execz .LBB0_21
; %bb.20:
	v_mul_f16_sdwa v5, v1, v36 dst_sel:DWORD dst_unused:UNUSED_PAD src0_sel:WORD_1 src1_sel:DWORD
	v_mul_f16_sdwa v6, v0, v31 dst_sel:DWORD dst_unused:UNUSED_PAD src0_sel:WORD_1 src1_sel:DWORD
	;; [unrolled: 1-line block ×4, first 2 shown]
	v_fma_f16 v5, v1, v63, -v5
	v_fma_f16 v6, v0, v62, -v6
	;; [unrolled: 1-line block ×4, first 2 shown]
	v_sub_f16_e32 v7, v5, v6
	v_sub_f16_e32 v10, v8, v9
	v_add_f16_e32 v7, v7, v10
	v_mul_f16_sdwa v10, v1, v63 dst_sel:DWORD dst_unused:UNUSED_PAD src0_sel:WORD_1 src1_sel:DWORD
	v_fma_f16 v1, v1, v36, v10
	v_mul_f16_sdwa v10, v2, v61 dst_sel:DWORD dst_unused:UNUSED_PAD src0_sel:WORD_1 src1_sel:DWORD
	v_mul_f16_sdwa v13, v0, v62 dst_sel:DWORD dst_unused:UNUSED_PAD src0_sel:WORD_1 src1_sel:DWORD
	v_fma_f16 v2, v2, v37, v10
	v_add_f16_e32 v11, v6, v9
	v_fma_f16 v0, v0, v31, v13
	v_mul_f16_sdwa v13, v3, v60 dst_sel:DWORD dst_unused:UNUSED_PAD src0_sel:WORD_1 src1_sel:DWORD
	v_sub_f16_e32 v10, v1, v2
	v_fma_f16 v11, v11, -0.5, v26
	v_fma_f16 v3, v3, v57, v13
	v_fma_f16 v12, v10, s15, v11
	v_sub_f16_e32 v13, v0, v3
	v_fma_f16 v11, v10, s6, v11
	v_fma_f16 v12, v13, s7, v12
	;; [unrolled: 1-line block ×5, first 2 shown]
	v_sub_f16_e32 v11, v6, v5
	v_sub_f16_e32 v14, v9, v8
	v_add_f16_e32 v11, v11, v14
	v_add_f16_e32 v14, v5, v8
	v_fma_f16 v14, v14, -0.5, v26
	v_fma_f16 v15, v13, s6, v14
	v_fma_f16 v13, v13, s15, v14
	;; [unrolled: 1-line block ×6, first 2 shown]
	v_add_f16_e32 v11, v26, v6
	v_add_f16_e32 v11, v11, v5
	;; [unrolled: 1-line block ×4, first 2 shown]
	v_sub_f16_e32 v6, v6, v9
	v_add_f16_e32 v9, v0, v3
	v_fma_f16 v9, v9, -0.5, v30
	v_sub_f16_e32 v5, v5, v8
	v_sub_f16_e32 v13, v1, v0
	;; [unrolled: 1-line block ×3, first 2 shown]
	v_fma_f16 v8, v5, s6, v9
	v_fma_f16 v9, v5, s15, v9
	v_add_f16_e32 v13, v13, v14
	v_fma_f16 v8, v6, s16, v8
	v_fma_f16 v9, v6, s7, v9
	v_fma_f16 v8, v13, s14, v8
	v_fma_f16 v9, v13, s14, v9
	v_sub_f16_e32 v13, v0, v1
	v_sub_f16_e32 v14, v3, v2
	v_add_f16_e32 v13, v13, v14
	v_add_f16_e32 v14, v1, v2
	v_fma_f16 v14, v14, -0.5, v30
	v_add_f16_e32 v0, v30, v0
	v_fma_f16 v16, v6, s15, v14
	v_fma_f16 v6, v6, s6, v14
	v_add_f16_e32 v0, v0, v1
	v_fma_f16 v16, v5, s16, v16
	v_fma_f16 v5, v5, s7, v6
	v_add_f16_e32 v0, v0, v2
	v_fma_f16 v5, v13, s14, v5
	v_add_f16_e32 v0, v0, v3
	v_pack_b32_f16 v0, v0, v11
	v_pack_b32_f16 v1, v5, v10
	v_add_u32_e32 v2, 0x200, v4
	v_fma_f16 v16, v13, s14, v16
	ds_write2_b32 v2, v0, v1 offset0:42 offset1:229
	v_pack_b32_f16 v0, v9, v7
	v_pack_b32_f16 v1, v8, v12
	v_add_u32_e32 v2, 0x800, v4
	ds_write2_b32 v2, v0, v1 offset0:32 offset1:219
	v_pack_b32_f16 v0, v16, v15
	ds_write_b32 v4, v0 offset:3672
.LBB0_21:
	s_or_b64 exec, exec, s[4:5]
	s_waitcnt lgkmcnt(0)
	s_barrier
	s_and_b64 exec, exec, vcc
	s_cbranch_execz .LBB0_23
; %bb.22:
	global_load_dword v1, v23, s[12:13]
	ds_read_b32 v5, v21
	v_mad_u64_u32 v[6:7], s[0:1], s10, v22, 0
	v_mad_u64_u32 v[8:9], s[0:1], s8, v20, 0
	v_mov_b32_e32 v10, v7
	s_waitcnt lgkmcnt(0)
	v_lshrrev_b32_e32 v7, 16, v5
	v_mov_b32_e32 v12, v9
	v_mad_u64_u32 v[10:11], s[0:1], s11, v22, v[10:11]
	s_mov_b32 s6, 0xfa401186
	s_mov_b32 s7, 0x3f5185e2
	v_mad_u64_u32 v[12:13], s[0:1], s9, v20, v[12:13]
	s_movk_i32 s16, 0x1ff
	s_movk_i32 s15, 0xffe
	v_mov_b32_e32 v2, s2
	v_mov_b32_e32 v3, s3
	;; [unrolled: 1-line block ×3, first 2 shown]
	s_movk_i32 s10, 0x40f
	s_mov_b32 s14, 0x8000
	s_mov_b32 s17, 0xffff
	s_mulk_i32 s9, 0xdc
	s_waitcnt vmcnt(0)
	v_mul_f16_sdwa v9, v7, v1 dst_sel:DWORD dst_unused:UNUSED_PAD src0_sel:DWORD src1_sel:WORD_1
	v_mul_f16_sdwa v11, v5, v1 dst_sel:DWORD dst_unused:UNUSED_PAD src0_sel:DWORD src1_sel:WORD_1
	v_fma_f16 v5, v5, v1, v9
	v_fma_f16 v1, v1, v7, -v11
	v_cvt_f32_f16_e32 v5, v5
	v_cvt_f32_f16_e32 v1, v1
	v_mov_b32_e32 v7, v10
	v_mov_b32_e32 v9, v12
	v_cvt_f64_f32_e32 v[10:11], v5
	v_cvt_f64_f32_e32 v[12:13], v1
	v_mul_f64 v[10:11], v[10:11], s[6:7]
	v_mul_f64 v[12:13], v[12:13], s[6:7]
	v_and_or_b32 v1, v11, s16, v10
	v_and_or_b32 v12, v13, s16, v12
	v_cmp_ne_u32_e32 vcc, 0, v1
	v_lshrrev_b32_e32 v5, 8, v11
	v_bfe_u32 v10, v11, 20, 11
	v_cndmask_b32_e64 v1, 0, 1, vcc
	v_cmp_ne_u32_e32 vcc, 0, v12
	v_lshrrev_b32_e32 v14, 8, v13
	v_bfe_u32 v15, v13, 20, 11
	v_sub_u32_e32 v16, 0x3f1, v10
	v_cndmask_b32_e64 v12, 0, 1, vcc
	v_and_or_b32 v1, v5, s15, v1
	v_sub_u32_e32 v17, 0x3f1, v15
	v_med3_i32 v5, v16, 0, 13
	v_and_or_b32 v12, v14, s15, v12
	v_or_b32_e32 v16, 0x1000, v1
	v_add_u32_e32 v10, 0xfffffc10, v10
	v_med3_i32 v14, v17, 0, 13
	v_cmp_ne_u32_e32 vcc, 0, v1
	v_or_b32_e32 v18, 0x1000, v12
	v_lshrrev_b32_e32 v20, v5, v16
	v_add_u32_e32 v15, 0xfffffc10, v15
	v_lshl_or_b32 v17, v10, 12, v1
	v_cndmask_b32_e64 v1, 0, 1, vcc
	v_cmp_ne_u32_e32 vcc, 0, v12
	v_lshrrev_b32_e32 v21, v14, v18
	v_lshlrev_b32_e32 v5, v5, v20
	v_lshl_or_b32 v19, v15, 12, v12
	v_cndmask_b32_e64 v12, 0, 1, vcc
	v_lshlrev_b32_e32 v14, v14, v21
	v_cmp_ne_u32_e32 vcc, v5, v16
	v_lshl_or_b32 v1, v1, 9, v0
	v_lshl_or_b32 v12, v12, 9, v0
	v_cndmask_b32_e64 v5, 0, 1, vcc
	v_cmp_ne_u32_e32 vcc, v14, v18
	v_or_b32_e32 v5, v20, v5
	v_and_b32_sdwa v11, v11, s14 dst_sel:DWORD dst_unused:UNUSED_PAD src0_sel:WORD_1 src1_sel:DWORD
	v_cndmask_b32_e64 v14, 0, 1, vcc
	v_cmp_gt_i32_e32 vcc, 1, v10
	v_or_b32_e32 v14, v21, v14
	v_lshrrev_b32_e32 v13, 16, v13
	v_cndmask_b32_e32 v5, v17, v5, vcc
	v_cmp_gt_i32_e32 vcc, 1, v15
	v_and_b32_e32 v16, 7, v5
	v_cmp_eq_u32_e64 s[0:1], 3, v16
	v_cndmask_b32_e32 v14, v19, v14, vcc
	v_cmp_lt_i32_e32 vcc, 5, v16
	v_lshrrev_b32_e32 v5, 2, v5
	v_and_b32_e32 v17, 7, v14
	s_or_b64 vcc, s[0:1], vcc
	v_cmp_lt_i32_e64 s[2:3], 5, v17
	v_cmp_eq_u32_e64 s[4:5], 3, v17
	v_addc_co_u32_e32 v5, vcc, 0, v5, vcc
	v_lshrrev_b32_e32 v14, 2, v14
	s_or_b64 vcc, s[4:5], s[2:3]
	v_addc_co_u32_e32 v14, vcc, 0, v14, vcc
	v_cmp_gt_i32_e32 vcc, 31, v10
	v_lshl_add_u64 v[2:3], v[6:7], 2, v[2:3]
	v_lshl_add_u64 v[2:3], v[8:9], 2, v[2:3]
	v_cndmask_b32_e32 v5, v0, v5, vcc
	v_cmp_gt_i32_e32 vcc, 31, v15
	ds_read2_b32 v[6:7], v4 offset0:55 offset1:110
	s_waitcnt lgkmcnt(0)
	v_lshrrev_b32_e32 v8, 16, v6
	v_cndmask_b32_e32 v14, v0, v14, vcc
	v_cmp_eq_u32_e32 vcc, s10, v10
	s_nop 1
	v_cndmask_b32_e32 v1, v5, v1, vcc
	v_cmp_eq_u32_e32 vcc, s10, v15
	v_bitop3_b32 v1, v11, s17, v1 bitop3:0xc8
	s_nop 0
	v_cndmask_b32_e32 v5, v14, v12, vcc
	v_and_or_b32 v5, v13, s14, v5
	v_lshl_or_b32 v1, v5, 16, v1
	global_store_dword v[2:3], v1, off
	global_load_dword v5, v23, s[12:13] offset:220
	v_mov_b32_e32 v1, 0xdc
	v_mad_u64_u32 v[2:3], s[0:1], s8, v1, v[2:3]
	v_add_u32_e32 v3, s9, v3
	s_waitcnt vmcnt(0)
	v_mul_f16_sdwa v9, v8, v5 dst_sel:DWORD dst_unused:UNUSED_PAD src0_sel:DWORD src1_sel:WORD_1
	v_mul_f16_sdwa v10, v6, v5 dst_sel:DWORD dst_unused:UNUSED_PAD src0_sel:DWORD src1_sel:WORD_1
	v_fma_f16 v6, v6, v5, v9
	v_fma_f16 v5, v5, v8, -v10
	v_cvt_f32_f16_e32 v6, v6
	v_cvt_f32_f16_e32 v5, v5
	v_cvt_f64_f32_e32 v[8:9], v6
	v_cvt_f64_f32_e32 v[10:11], v5
	v_mul_f64 v[8:9], v[8:9], s[6:7]
	v_mul_f64 v[10:11], v[10:11], s[6:7]
	v_and_or_b32 v5, v9, s16, v8
	v_and_or_b32 v10, v11, s16, v10
	v_cmp_ne_u32_e32 vcc, 0, v5
	v_lshrrev_b32_e32 v6, 8, v9
	v_bfe_u32 v8, v9, 20, 11
	v_cndmask_b32_e64 v5, 0, 1, vcc
	v_cmp_ne_u32_e32 vcc, 0, v10
	v_lshrrev_b32_e32 v12, 8, v11
	v_bfe_u32 v13, v11, 20, 11
	v_sub_u32_e32 v14, 0x3f1, v8
	v_cndmask_b32_e64 v10, 0, 1, vcc
	v_and_or_b32 v5, v6, s15, v5
	v_sub_u32_e32 v15, 0x3f1, v13
	v_med3_i32 v6, v14, 0, 13
	v_and_or_b32 v10, v12, s15, v10
	v_or_b32_e32 v14, 0x1000, v5
	v_add_u32_e32 v8, 0xfffffc10, v8
	v_med3_i32 v12, v15, 0, 13
	v_cmp_ne_u32_e32 vcc, 0, v5
	v_or_b32_e32 v16, 0x1000, v10
	v_lshrrev_b32_e32 v18, v6, v14
	v_add_u32_e32 v13, 0xfffffc10, v13
	v_lshl_or_b32 v15, v8, 12, v5
	v_cndmask_b32_e64 v5, 0, 1, vcc
	v_cmp_ne_u32_e32 vcc, 0, v10
	v_lshrrev_b32_e32 v19, v12, v16
	v_lshlrev_b32_e32 v6, v6, v18
	v_lshl_or_b32 v17, v13, 12, v10
	v_cndmask_b32_e64 v10, 0, 1, vcc
	v_lshlrev_b32_e32 v12, v12, v19
	v_cmp_ne_u32_e32 vcc, v6, v14
	v_lshl_or_b32 v5, v5, 9, v0
	v_lshl_or_b32 v10, v10, 9, v0
	v_cndmask_b32_e64 v6, 0, 1, vcc
	v_cmp_ne_u32_e32 vcc, v12, v16
	v_or_b32_e32 v6, v18, v6
	v_and_b32_sdwa v9, v9, s14 dst_sel:DWORD dst_unused:UNUSED_PAD src0_sel:WORD_1 src1_sel:DWORD
	v_cndmask_b32_e64 v12, 0, 1, vcc
	v_cmp_gt_i32_e32 vcc, 1, v8
	v_or_b32_e32 v12, v19, v12
	v_lshrrev_b32_e32 v11, 16, v11
	v_cndmask_b32_e32 v6, v15, v6, vcc
	v_cmp_gt_i32_e32 vcc, 1, v13
	v_and_b32_e32 v14, 7, v6
	v_cmp_eq_u32_e64 s[0:1], 3, v14
	v_cndmask_b32_e32 v12, v17, v12, vcc
	v_cmp_lt_i32_e32 vcc, 5, v14
	v_lshrrev_b32_e32 v6, 2, v6
	v_and_b32_e32 v15, 7, v12
	s_or_b64 vcc, s[0:1], vcc
	v_cmp_lt_i32_e64 s[2:3], 5, v15
	v_cmp_eq_u32_e64 s[4:5], 3, v15
	v_addc_co_u32_e32 v6, vcc, 0, v6, vcc
	v_lshrrev_b32_e32 v12, 2, v12
	s_or_b64 vcc, s[4:5], s[2:3]
	v_addc_co_u32_e32 v12, vcc, 0, v12, vcc
	v_cmp_gt_i32_e32 vcc, 31, v8
	s_nop 1
	v_cndmask_b32_e32 v6, v0, v6, vcc
	v_cmp_gt_i32_e32 vcc, 31, v13
	s_nop 1
	v_cndmask_b32_e32 v12, v0, v12, vcc
	v_cmp_eq_u32_e32 vcc, s10, v8
	s_nop 1
	v_cndmask_b32_e32 v5, v6, v5, vcc
	v_cmp_eq_u32_e32 vcc, s10, v13
	v_bitop3_b32 v5, v9, s17, v5 bitop3:0xc8
	s_nop 0
	v_cndmask_b32_e32 v6, v12, v10, vcc
	v_and_or_b32 v6, v11, s14, v6
	v_lshl_or_b32 v5, v6, 16, v5
	global_store_dword v[2:3], v5, off
	global_load_dword v5, v23, s[12:13] offset:440
	v_lshrrev_b32_e32 v6, 16, v7
	v_mad_u64_u32 v[2:3], s[0:1], s8, v1, v[2:3]
	v_add_u32_e32 v3, s9, v3
	s_waitcnt vmcnt(0)
	v_mul_f16_sdwa v8, v6, v5 dst_sel:DWORD dst_unused:UNUSED_PAD src0_sel:DWORD src1_sel:WORD_1
	v_mul_f16_sdwa v9, v7, v5 dst_sel:DWORD dst_unused:UNUSED_PAD src0_sel:DWORD src1_sel:WORD_1
	v_fma_f16 v7, v7, v5, v8
	v_fma_f16 v5, v5, v6, -v9
	v_cvt_f32_f16_e32 v6, v7
	v_cvt_f32_f16_e32 v5, v5
	v_cvt_f64_f32_e32 v[6:7], v6
	v_cvt_f64_f32_e32 v[8:9], v5
	v_mul_f64 v[6:7], v[6:7], s[6:7]
	v_mul_f64 v[8:9], v[8:9], s[6:7]
	v_and_or_b32 v5, v7, s16, v6
	v_and_or_b32 v8, v9, s16, v8
	v_cmp_ne_u32_e32 vcc, 0, v5
	v_lshrrev_b32_e32 v6, 8, v7
	v_bfe_u32 v10, v7, 20, 11
	v_cndmask_b32_e64 v5, 0, 1, vcc
	v_cmp_ne_u32_e32 vcc, 0, v8
	v_lshrrev_b32_e32 v11, 8, v9
	v_bfe_u32 v12, v9, 20, 11
	v_sub_u32_e32 v13, 0x3f1, v10
	v_cndmask_b32_e64 v8, 0, 1, vcc
	v_and_or_b32 v5, v6, s15, v5
	v_sub_u32_e32 v14, 0x3f1, v12
	v_med3_i32 v6, v13, 0, 13
	v_and_or_b32 v8, v11, s15, v8
	v_or_b32_e32 v13, 0x1000, v5
	v_add_u32_e32 v10, 0xfffffc10, v10
	v_med3_i32 v11, v14, 0, 13
	v_cmp_ne_u32_e32 vcc, 0, v5
	v_or_b32_e32 v15, 0x1000, v8
	v_lshrrev_b32_e32 v17, v6, v13
	v_add_u32_e32 v12, 0xfffffc10, v12
	v_lshl_or_b32 v14, v10, 12, v5
	v_cndmask_b32_e64 v5, 0, 1, vcc
	v_cmp_ne_u32_e32 vcc, 0, v8
	v_lshrrev_b32_e32 v18, v11, v15
	v_lshlrev_b32_e32 v6, v6, v17
	v_lshl_or_b32 v16, v12, 12, v8
	v_cndmask_b32_e64 v8, 0, 1, vcc
	v_lshlrev_b32_e32 v11, v11, v18
	v_cmp_ne_u32_e32 vcc, v6, v13
	v_lshl_or_b32 v5, v5, 9, v0
	v_lshl_or_b32 v8, v8, 9, v0
	v_cndmask_b32_e64 v6, 0, 1, vcc
	v_cmp_ne_u32_e32 vcc, v11, v15
	v_or_b32_e32 v6, v17, v6
	v_and_b32_sdwa v7, v7, s14 dst_sel:DWORD dst_unused:UNUSED_PAD src0_sel:WORD_1 src1_sel:DWORD
	v_cndmask_b32_e64 v11, 0, 1, vcc
	v_cmp_gt_i32_e32 vcc, 1, v10
	v_or_b32_e32 v11, v18, v11
	v_lshrrev_b32_e32 v9, 16, v9
	v_cndmask_b32_e32 v6, v14, v6, vcc
	v_cmp_gt_i32_e32 vcc, 1, v12
	v_and_b32_e32 v13, 7, v6
	v_cmp_eq_u32_e64 s[0:1], 3, v13
	v_cndmask_b32_e32 v11, v16, v11, vcc
	v_cmp_lt_i32_e32 vcc, 5, v13
	v_lshrrev_b32_e32 v6, 2, v6
	v_and_b32_e32 v14, 7, v11
	s_or_b64 vcc, s[0:1], vcc
	v_cmp_lt_i32_e64 s[2:3], 5, v14
	v_cmp_eq_u32_e64 s[4:5], 3, v14
	v_addc_co_u32_e32 v6, vcc, 0, v6, vcc
	v_lshrrev_b32_e32 v11, 2, v11
	s_or_b64 vcc, s[4:5], s[2:3]
	v_addc_co_u32_e32 v11, vcc, 0, v11, vcc
	v_cmp_gt_i32_e32 vcc, 31, v10
	s_nop 1
	v_cndmask_b32_e32 v6, v0, v6, vcc
	v_cmp_gt_i32_e32 vcc, 31, v12
	s_nop 1
	v_cndmask_b32_e32 v11, v0, v11, vcc
	v_cmp_eq_u32_e32 vcc, s10, v10
	s_nop 1
	v_cndmask_b32_e32 v5, v6, v5, vcc
	v_cmp_eq_u32_e32 vcc, s10, v12
	v_bitop3_b32 v5, v7, s17, v5 bitop3:0xc8
	s_nop 0
	v_cndmask_b32_e32 v6, v11, v8, vcc
	v_and_or_b32 v6, v9, s14, v6
	v_lshl_or_b32 v5, v6, 16, v5
	global_store_dword v[2:3], v5, off
	global_load_dword v5, v23, s[12:13] offset:660
	ds_read2_b32 v[6:7], v4 offset0:165 offset1:220
	v_mad_u64_u32 v[2:3], s[0:1], s8, v1, v[2:3]
	v_add_u32_e32 v3, s9, v3
	s_waitcnt lgkmcnt(0)
	v_lshrrev_b32_e32 v8, 16, v6
	s_waitcnt vmcnt(0)
	v_mul_f16_sdwa v9, v8, v5 dst_sel:DWORD dst_unused:UNUSED_PAD src0_sel:DWORD src1_sel:WORD_1
	v_mul_f16_sdwa v10, v6, v5 dst_sel:DWORD dst_unused:UNUSED_PAD src0_sel:DWORD src1_sel:WORD_1
	v_fma_f16 v6, v6, v5, v9
	v_fma_f16 v5, v5, v8, -v10
	v_cvt_f32_f16_e32 v6, v6
	v_cvt_f32_f16_e32 v5, v5
	v_cvt_f64_f32_e32 v[8:9], v6
	v_cvt_f64_f32_e32 v[10:11], v5
	v_mul_f64 v[8:9], v[8:9], s[6:7]
	v_mul_f64 v[10:11], v[10:11], s[6:7]
	v_and_or_b32 v5, v9, s16, v8
	v_and_or_b32 v10, v11, s16, v10
	v_cmp_ne_u32_e32 vcc, 0, v5
	v_lshrrev_b32_e32 v6, 8, v9
	v_bfe_u32 v8, v9, 20, 11
	v_cndmask_b32_e64 v5, 0, 1, vcc
	v_cmp_ne_u32_e32 vcc, 0, v10
	v_lshrrev_b32_e32 v12, 8, v11
	v_bfe_u32 v13, v11, 20, 11
	v_sub_u32_e32 v14, 0x3f1, v8
	v_cndmask_b32_e64 v10, 0, 1, vcc
	v_and_or_b32 v5, v6, s15, v5
	v_sub_u32_e32 v15, 0x3f1, v13
	v_med3_i32 v6, v14, 0, 13
	v_and_or_b32 v10, v12, s15, v10
	v_or_b32_e32 v14, 0x1000, v5
	v_add_u32_e32 v8, 0xfffffc10, v8
	v_med3_i32 v12, v15, 0, 13
	v_cmp_ne_u32_e32 vcc, 0, v5
	v_or_b32_e32 v16, 0x1000, v10
	v_lshrrev_b32_e32 v18, v6, v14
	v_add_u32_e32 v13, 0xfffffc10, v13
	v_lshl_or_b32 v15, v8, 12, v5
	v_cndmask_b32_e64 v5, 0, 1, vcc
	v_cmp_ne_u32_e32 vcc, 0, v10
	v_lshrrev_b32_e32 v19, v12, v16
	v_lshlrev_b32_e32 v6, v6, v18
	v_lshl_or_b32 v17, v13, 12, v10
	v_cndmask_b32_e64 v10, 0, 1, vcc
	v_lshlrev_b32_e32 v12, v12, v19
	v_cmp_ne_u32_e32 vcc, v6, v14
	v_lshl_or_b32 v5, v5, 9, v0
	v_lshl_or_b32 v10, v10, 9, v0
	v_cndmask_b32_e64 v6, 0, 1, vcc
	v_cmp_ne_u32_e32 vcc, v12, v16
	v_or_b32_e32 v6, v18, v6
	v_and_b32_sdwa v9, v9, s14 dst_sel:DWORD dst_unused:UNUSED_PAD src0_sel:WORD_1 src1_sel:DWORD
	v_cndmask_b32_e64 v12, 0, 1, vcc
	v_cmp_gt_i32_e32 vcc, 1, v8
	v_or_b32_e32 v12, v19, v12
	v_lshrrev_b32_e32 v11, 16, v11
	v_cndmask_b32_e32 v6, v15, v6, vcc
	v_cmp_gt_i32_e32 vcc, 1, v13
	v_and_b32_e32 v14, 7, v6
	v_cmp_eq_u32_e64 s[0:1], 3, v14
	v_cndmask_b32_e32 v12, v17, v12, vcc
	v_cmp_lt_i32_e32 vcc, 5, v14
	v_lshrrev_b32_e32 v6, 2, v6
	v_and_b32_e32 v15, 7, v12
	s_or_b64 vcc, s[0:1], vcc
	v_cmp_lt_i32_e64 s[2:3], 5, v15
	v_cmp_eq_u32_e64 s[4:5], 3, v15
	v_addc_co_u32_e32 v6, vcc, 0, v6, vcc
	v_lshrrev_b32_e32 v12, 2, v12
	s_or_b64 vcc, s[4:5], s[2:3]
	v_addc_co_u32_e32 v12, vcc, 0, v12, vcc
	v_cmp_gt_i32_e32 vcc, 31, v8
	s_nop 1
	v_cndmask_b32_e32 v6, v0, v6, vcc
	v_cmp_gt_i32_e32 vcc, 31, v13
	s_nop 1
	v_cndmask_b32_e32 v12, v0, v12, vcc
	v_cmp_eq_u32_e32 vcc, s10, v8
	s_nop 1
	v_cndmask_b32_e32 v5, v6, v5, vcc
	v_cmp_eq_u32_e32 vcc, s10, v13
	v_bitop3_b32 v5, v9, s17, v5 bitop3:0xc8
	s_nop 0
	v_cndmask_b32_e32 v6, v12, v10, vcc
	v_and_or_b32 v6, v11, s14, v6
	v_lshl_or_b32 v5, v6, 16, v5
	global_store_dword v[2:3], v5, off
	global_load_dword v5, v23, s[12:13] offset:880
	v_lshrrev_b32_e32 v6, 16, v7
	v_mad_u64_u32 v[2:3], s[0:1], s8, v1, v[2:3]
	v_add_u32_e32 v3, s9, v3
	s_waitcnt vmcnt(0)
	v_mul_f16_sdwa v8, v6, v5 dst_sel:DWORD dst_unused:UNUSED_PAD src0_sel:DWORD src1_sel:WORD_1
	v_mul_f16_sdwa v9, v7, v5 dst_sel:DWORD dst_unused:UNUSED_PAD src0_sel:DWORD src1_sel:WORD_1
	v_fma_f16 v7, v7, v5, v8
	v_fma_f16 v5, v5, v6, -v9
	v_cvt_f32_f16_e32 v6, v7
	v_cvt_f32_f16_e32 v5, v5
	v_cvt_f64_f32_e32 v[6:7], v6
	v_cvt_f64_f32_e32 v[8:9], v5
	v_mul_f64 v[6:7], v[6:7], s[6:7]
	v_mul_f64 v[8:9], v[8:9], s[6:7]
	v_and_or_b32 v5, v7, s16, v6
	v_and_or_b32 v8, v9, s16, v8
	v_cmp_ne_u32_e32 vcc, 0, v5
	v_lshrrev_b32_e32 v6, 8, v7
	v_bfe_u32 v10, v7, 20, 11
	v_cndmask_b32_e64 v5, 0, 1, vcc
	v_cmp_ne_u32_e32 vcc, 0, v8
	v_lshrrev_b32_e32 v11, 8, v9
	v_bfe_u32 v12, v9, 20, 11
	v_sub_u32_e32 v13, 0x3f1, v10
	v_cndmask_b32_e64 v8, 0, 1, vcc
	v_and_or_b32 v5, v6, s15, v5
	v_sub_u32_e32 v14, 0x3f1, v12
	v_med3_i32 v6, v13, 0, 13
	v_and_or_b32 v8, v11, s15, v8
	v_or_b32_e32 v13, 0x1000, v5
	v_add_u32_e32 v10, 0xfffffc10, v10
	v_med3_i32 v11, v14, 0, 13
	v_cmp_ne_u32_e32 vcc, 0, v5
	v_or_b32_e32 v15, 0x1000, v8
	v_lshrrev_b32_e32 v17, v6, v13
	v_add_u32_e32 v12, 0xfffffc10, v12
	v_lshl_or_b32 v14, v10, 12, v5
	v_cndmask_b32_e64 v5, 0, 1, vcc
	v_cmp_ne_u32_e32 vcc, 0, v8
	v_lshrrev_b32_e32 v18, v11, v15
	v_lshlrev_b32_e32 v6, v6, v17
	v_lshl_or_b32 v16, v12, 12, v8
	v_cndmask_b32_e64 v8, 0, 1, vcc
	v_lshlrev_b32_e32 v11, v11, v18
	v_cmp_ne_u32_e32 vcc, v6, v13
	v_lshl_or_b32 v5, v5, 9, v0
	v_lshl_or_b32 v8, v8, 9, v0
	v_cndmask_b32_e64 v6, 0, 1, vcc
	v_cmp_ne_u32_e32 vcc, v11, v15
	v_or_b32_e32 v6, v17, v6
	v_and_b32_sdwa v7, v7, s14 dst_sel:DWORD dst_unused:UNUSED_PAD src0_sel:WORD_1 src1_sel:DWORD
	v_cndmask_b32_e64 v11, 0, 1, vcc
	v_cmp_gt_i32_e32 vcc, 1, v10
	v_or_b32_e32 v11, v18, v11
	v_lshrrev_b32_e32 v9, 16, v9
	v_cndmask_b32_e32 v6, v14, v6, vcc
	v_cmp_gt_i32_e32 vcc, 1, v12
	v_and_b32_e32 v13, 7, v6
	v_cmp_eq_u32_e64 s[0:1], 3, v13
	v_cndmask_b32_e32 v11, v16, v11, vcc
	v_cmp_lt_i32_e32 vcc, 5, v13
	v_lshrrev_b32_e32 v6, 2, v6
	v_and_b32_e32 v14, 7, v11
	s_or_b64 vcc, s[0:1], vcc
	v_cmp_lt_i32_e64 s[2:3], 5, v14
	v_cmp_eq_u32_e64 s[4:5], 3, v14
	v_addc_co_u32_e32 v6, vcc, 0, v6, vcc
	v_lshrrev_b32_e32 v11, 2, v11
	s_or_b64 vcc, s[4:5], s[2:3]
	v_addc_co_u32_e32 v11, vcc, 0, v11, vcc
	v_cmp_gt_i32_e32 vcc, 31, v10
	s_nop 1
	v_cndmask_b32_e32 v6, v0, v6, vcc
	v_cmp_gt_i32_e32 vcc, 31, v12
	s_nop 1
	v_cndmask_b32_e32 v11, v0, v11, vcc
	v_cmp_eq_u32_e32 vcc, s10, v10
	s_nop 1
	v_cndmask_b32_e32 v5, v6, v5, vcc
	v_cmp_eq_u32_e32 vcc, s10, v12
	v_bitop3_b32 v5, v7, s17, v5 bitop3:0xc8
	v_add_u32_e32 v12, 0x400, v4
	v_cndmask_b32_e32 v6, v11, v8, vcc
	v_and_or_b32 v6, v9, s14, v6
	v_lshl_or_b32 v5, v6, 16, v5
	global_store_dword v[2:3], v5, off
	global_load_dword v5, v23, s[12:13] offset:1100
	ds_read2_b32 v[6:7], v12 offset0:19 offset1:74
	v_mad_u64_u32 v[2:3], s[0:1], s8, v1, v[2:3]
	v_add_u32_e32 v3, s9, v3
	s_waitcnt lgkmcnt(0)
	v_lshrrev_b32_e32 v8, 16, v6
	s_waitcnt vmcnt(0)
	v_mul_f16_sdwa v9, v8, v5 dst_sel:DWORD dst_unused:UNUSED_PAD src0_sel:DWORD src1_sel:WORD_1
	v_mul_f16_sdwa v10, v6, v5 dst_sel:DWORD dst_unused:UNUSED_PAD src0_sel:DWORD src1_sel:WORD_1
	v_fma_f16 v6, v6, v5, v9
	v_fma_f16 v5, v5, v8, -v10
	v_cvt_f32_f16_e32 v6, v6
	v_cvt_f32_f16_e32 v5, v5
	v_cvt_f64_f32_e32 v[8:9], v6
	v_cvt_f64_f32_e32 v[10:11], v5
	v_mul_f64 v[8:9], v[8:9], s[6:7]
	v_mul_f64 v[10:11], v[10:11], s[6:7]
	v_and_or_b32 v5, v9, s16, v8
	v_and_or_b32 v10, v11, s16, v10
	v_cmp_ne_u32_e32 vcc, 0, v5
	v_lshrrev_b32_e32 v6, 8, v9
	v_bfe_u32 v8, v9, 20, 11
	v_cndmask_b32_e64 v5, 0, 1, vcc
	v_cmp_ne_u32_e32 vcc, 0, v10
	v_lshrrev_b32_e32 v13, 8, v11
	v_bfe_u32 v14, v11, 20, 11
	v_sub_u32_e32 v15, 0x3f1, v8
	v_cndmask_b32_e64 v10, 0, 1, vcc
	v_and_or_b32 v5, v6, s15, v5
	v_sub_u32_e32 v16, 0x3f1, v14
	v_med3_i32 v6, v15, 0, 13
	v_and_or_b32 v10, v13, s15, v10
	v_or_b32_e32 v15, 0x1000, v5
	v_add_u32_e32 v8, 0xfffffc10, v8
	v_med3_i32 v13, v16, 0, 13
	v_cmp_ne_u32_e32 vcc, 0, v5
	v_or_b32_e32 v17, 0x1000, v10
	v_lshrrev_b32_e32 v19, v6, v15
	v_add_u32_e32 v14, 0xfffffc10, v14
	v_lshl_or_b32 v16, v8, 12, v5
	v_cndmask_b32_e64 v5, 0, 1, vcc
	v_cmp_ne_u32_e32 vcc, 0, v10
	v_lshrrev_b32_e32 v20, v13, v17
	v_lshlrev_b32_e32 v6, v6, v19
	v_lshl_or_b32 v18, v14, 12, v10
	v_cndmask_b32_e64 v10, 0, 1, vcc
	v_lshlrev_b32_e32 v13, v13, v20
	v_cmp_ne_u32_e32 vcc, v6, v15
	v_lshl_or_b32 v5, v5, 9, v0
	v_lshl_or_b32 v10, v10, 9, v0
	v_cndmask_b32_e64 v6, 0, 1, vcc
	v_cmp_ne_u32_e32 vcc, v13, v17
	v_or_b32_e32 v6, v19, v6
	v_and_b32_sdwa v9, v9, s14 dst_sel:DWORD dst_unused:UNUSED_PAD src0_sel:WORD_1 src1_sel:DWORD
	v_cndmask_b32_e64 v13, 0, 1, vcc
	v_cmp_gt_i32_e32 vcc, 1, v8
	v_or_b32_e32 v13, v20, v13
	v_lshrrev_b32_e32 v11, 16, v11
	v_cndmask_b32_e32 v6, v16, v6, vcc
	v_cmp_gt_i32_e32 vcc, 1, v14
	v_and_b32_e32 v15, 7, v6
	v_cmp_eq_u32_e64 s[0:1], 3, v15
	v_cndmask_b32_e32 v13, v18, v13, vcc
	v_cmp_lt_i32_e32 vcc, 5, v15
	v_lshrrev_b32_e32 v6, 2, v6
	v_and_b32_e32 v16, 7, v13
	s_or_b64 vcc, s[0:1], vcc
	v_cmp_lt_i32_e64 s[2:3], 5, v16
	v_cmp_eq_u32_e64 s[4:5], 3, v16
	v_addc_co_u32_e32 v6, vcc, 0, v6, vcc
	v_lshrrev_b32_e32 v13, 2, v13
	s_or_b64 vcc, s[4:5], s[2:3]
	v_addc_co_u32_e32 v13, vcc, 0, v13, vcc
	v_cmp_gt_i32_e32 vcc, 31, v8
	s_nop 1
	v_cndmask_b32_e32 v6, v0, v6, vcc
	v_cmp_gt_i32_e32 vcc, 31, v14
	s_nop 1
	v_cndmask_b32_e32 v13, v0, v13, vcc
	v_cmp_eq_u32_e32 vcc, s10, v8
	s_nop 1
	v_cndmask_b32_e32 v5, v6, v5, vcc
	v_cmp_eq_u32_e32 vcc, s10, v14
	v_bitop3_b32 v5, v9, s17, v5 bitop3:0xc8
	s_nop 0
	v_cndmask_b32_e32 v6, v13, v10, vcc
	v_and_or_b32 v6, v11, s14, v6
	v_lshl_or_b32 v5, v6, 16, v5
	global_store_dword v[2:3], v5, off
	global_load_dword v5, v23, s[12:13] offset:1320
	v_lshrrev_b32_e32 v6, 16, v7
	v_mad_u64_u32 v[2:3], s[0:1], s8, v1, v[2:3]
	v_add_u32_e32 v3, s9, v3
	s_waitcnt vmcnt(0)
	v_mul_f16_sdwa v8, v6, v5 dst_sel:DWORD dst_unused:UNUSED_PAD src0_sel:DWORD src1_sel:WORD_1
	v_mul_f16_sdwa v9, v7, v5 dst_sel:DWORD dst_unused:UNUSED_PAD src0_sel:DWORD src1_sel:WORD_1
	v_fma_f16 v7, v7, v5, v8
	v_fma_f16 v5, v5, v6, -v9
	v_cvt_f32_f16_e32 v6, v7
	v_cvt_f32_f16_e32 v5, v5
	v_cvt_f64_f32_e32 v[6:7], v6
	v_cvt_f64_f32_e32 v[8:9], v5
	v_mul_f64 v[6:7], v[6:7], s[6:7]
	v_mul_f64 v[8:9], v[8:9], s[6:7]
	v_and_or_b32 v5, v7, s16, v6
	v_and_or_b32 v8, v9, s16, v8
	v_cmp_ne_u32_e32 vcc, 0, v5
	v_lshrrev_b32_e32 v6, 8, v7
	v_bfe_u32 v10, v7, 20, 11
	v_cndmask_b32_e64 v5, 0, 1, vcc
	v_cmp_ne_u32_e32 vcc, 0, v8
	v_lshrrev_b32_e32 v11, 8, v9
	v_bfe_u32 v13, v9, 20, 11
	v_sub_u32_e32 v14, 0x3f1, v10
	v_cndmask_b32_e64 v8, 0, 1, vcc
	v_and_or_b32 v5, v6, s15, v5
	v_sub_u32_e32 v15, 0x3f1, v13
	v_med3_i32 v6, v14, 0, 13
	v_and_or_b32 v8, v11, s15, v8
	v_or_b32_e32 v14, 0x1000, v5
	v_add_u32_e32 v10, 0xfffffc10, v10
	v_med3_i32 v11, v15, 0, 13
	v_cmp_ne_u32_e32 vcc, 0, v5
	v_or_b32_e32 v16, 0x1000, v8
	v_lshrrev_b32_e32 v18, v6, v14
	v_add_u32_e32 v13, 0xfffffc10, v13
	v_lshl_or_b32 v15, v10, 12, v5
	v_cndmask_b32_e64 v5, 0, 1, vcc
	v_cmp_ne_u32_e32 vcc, 0, v8
	v_lshrrev_b32_e32 v19, v11, v16
	v_lshlrev_b32_e32 v6, v6, v18
	v_lshl_or_b32 v17, v13, 12, v8
	v_cndmask_b32_e64 v8, 0, 1, vcc
	v_lshlrev_b32_e32 v11, v11, v19
	v_cmp_ne_u32_e32 vcc, v6, v14
	v_lshl_or_b32 v5, v5, 9, v0
	v_lshl_or_b32 v8, v8, 9, v0
	v_cndmask_b32_e64 v6, 0, 1, vcc
	v_cmp_ne_u32_e32 vcc, v11, v16
	v_or_b32_e32 v6, v18, v6
	v_and_b32_sdwa v7, v7, s14 dst_sel:DWORD dst_unused:UNUSED_PAD src0_sel:WORD_1 src1_sel:DWORD
	v_cndmask_b32_e64 v11, 0, 1, vcc
	v_cmp_gt_i32_e32 vcc, 1, v10
	v_or_b32_e32 v11, v19, v11
	v_lshrrev_b32_e32 v9, 16, v9
	v_cndmask_b32_e32 v6, v15, v6, vcc
	v_cmp_gt_i32_e32 vcc, 1, v13
	v_and_b32_e32 v14, 7, v6
	v_cmp_eq_u32_e64 s[0:1], 3, v14
	v_cndmask_b32_e32 v11, v17, v11, vcc
	v_cmp_lt_i32_e32 vcc, 5, v14
	v_lshrrev_b32_e32 v6, 2, v6
	v_and_b32_e32 v15, 7, v11
	s_or_b64 vcc, s[0:1], vcc
	v_cmp_lt_i32_e64 s[2:3], 5, v15
	v_cmp_eq_u32_e64 s[4:5], 3, v15
	v_addc_co_u32_e32 v6, vcc, 0, v6, vcc
	v_lshrrev_b32_e32 v11, 2, v11
	s_or_b64 vcc, s[4:5], s[2:3]
	v_addc_co_u32_e32 v11, vcc, 0, v11, vcc
	v_cmp_gt_i32_e32 vcc, 31, v10
	s_nop 1
	v_cndmask_b32_e32 v6, v0, v6, vcc
	v_cmp_gt_i32_e32 vcc, 31, v13
	s_nop 1
	v_cndmask_b32_e32 v11, v0, v11, vcc
	v_cmp_eq_u32_e32 vcc, s10, v10
	s_nop 1
	v_cndmask_b32_e32 v5, v6, v5, vcc
	v_cmp_eq_u32_e32 vcc, s10, v13
	v_bitop3_b32 v5, v7, s17, v5 bitop3:0xc8
	s_nop 0
	v_cndmask_b32_e32 v6, v11, v8, vcc
	v_and_or_b32 v6, v9, s14, v6
	v_lshl_or_b32 v5, v6, 16, v5
	global_store_dword v[2:3], v5, off
	global_load_dword v5, v23, s[12:13] offset:1540
	ds_read2_b32 v[6:7], v12 offset0:129 offset1:184
	v_mad_u64_u32 v[2:3], s[0:1], s8, v1, v[2:3]
	v_add_u32_e32 v3, s9, v3
	s_waitcnt lgkmcnt(0)
	v_lshrrev_b32_e32 v8, 16, v6
	s_waitcnt vmcnt(0)
	v_mul_f16_sdwa v9, v8, v5 dst_sel:DWORD dst_unused:UNUSED_PAD src0_sel:DWORD src1_sel:WORD_1
	v_mul_f16_sdwa v10, v6, v5 dst_sel:DWORD dst_unused:UNUSED_PAD src0_sel:DWORD src1_sel:WORD_1
	v_fma_f16 v6, v6, v5, v9
	v_fma_f16 v5, v5, v8, -v10
	v_cvt_f32_f16_e32 v6, v6
	v_cvt_f32_f16_e32 v5, v5
	v_cvt_f64_f32_e32 v[8:9], v6
	v_cvt_f64_f32_e32 v[10:11], v5
	v_mul_f64 v[8:9], v[8:9], s[6:7]
	v_mul_f64 v[10:11], v[10:11], s[6:7]
	v_and_or_b32 v5, v9, s16, v8
	v_and_or_b32 v10, v11, s16, v10
	v_cmp_ne_u32_e32 vcc, 0, v5
	v_lshrrev_b32_e32 v6, 8, v9
	v_bfe_u32 v8, v9, 20, 11
	v_cndmask_b32_e64 v5, 0, 1, vcc
	v_cmp_ne_u32_e32 vcc, 0, v10
	v_lshrrev_b32_e32 v12, 8, v11
	v_bfe_u32 v13, v11, 20, 11
	v_sub_u32_e32 v14, 0x3f1, v8
	v_cndmask_b32_e64 v10, 0, 1, vcc
	v_and_or_b32 v5, v6, s15, v5
	v_sub_u32_e32 v15, 0x3f1, v13
	v_med3_i32 v6, v14, 0, 13
	v_and_or_b32 v10, v12, s15, v10
	v_or_b32_e32 v14, 0x1000, v5
	v_add_u32_e32 v8, 0xfffffc10, v8
	v_med3_i32 v12, v15, 0, 13
	v_cmp_ne_u32_e32 vcc, 0, v5
	v_or_b32_e32 v16, 0x1000, v10
	v_lshrrev_b32_e32 v18, v6, v14
	v_add_u32_e32 v13, 0xfffffc10, v13
	v_lshl_or_b32 v15, v8, 12, v5
	v_cndmask_b32_e64 v5, 0, 1, vcc
	v_cmp_ne_u32_e32 vcc, 0, v10
	v_lshrrev_b32_e32 v19, v12, v16
	v_lshlrev_b32_e32 v6, v6, v18
	v_lshl_or_b32 v17, v13, 12, v10
	v_cndmask_b32_e64 v10, 0, 1, vcc
	v_lshlrev_b32_e32 v12, v12, v19
	v_cmp_ne_u32_e32 vcc, v6, v14
	v_lshl_or_b32 v5, v5, 9, v0
	v_lshl_or_b32 v10, v10, 9, v0
	v_cndmask_b32_e64 v6, 0, 1, vcc
	v_cmp_ne_u32_e32 vcc, v12, v16
	v_or_b32_e32 v6, v18, v6
	v_and_b32_sdwa v9, v9, s14 dst_sel:DWORD dst_unused:UNUSED_PAD src0_sel:WORD_1 src1_sel:DWORD
	v_cndmask_b32_e64 v12, 0, 1, vcc
	v_cmp_gt_i32_e32 vcc, 1, v8
	v_or_b32_e32 v12, v19, v12
	v_lshrrev_b32_e32 v11, 16, v11
	v_cndmask_b32_e32 v6, v15, v6, vcc
	v_cmp_gt_i32_e32 vcc, 1, v13
	v_and_b32_e32 v14, 7, v6
	v_cmp_eq_u32_e64 s[0:1], 3, v14
	v_cndmask_b32_e32 v12, v17, v12, vcc
	v_cmp_lt_i32_e32 vcc, 5, v14
	v_lshrrev_b32_e32 v6, 2, v6
	v_and_b32_e32 v15, 7, v12
	s_or_b64 vcc, s[0:1], vcc
	v_cmp_lt_i32_e64 s[2:3], 5, v15
	v_cmp_eq_u32_e64 s[4:5], 3, v15
	v_addc_co_u32_e32 v6, vcc, 0, v6, vcc
	v_lshrrev_b32_e32 v12, 2, v12
	s_or_b64 vcc, s[4:5], s[2:3]
	v_addc_co_u32_e32 v12, vcc, 0, v12, vcc
	v_cmp_gt_i32_e32 vcc, 31, v8
	s_nop 1
	v_cndmask_b32_e32 v6, v0, v6, vcc
	v_cmp_gt_i32_e32 vcc, 31, v13
	s_nop 1
	v_cndmask_b32_e32 v12, v0, v12, vcc
	v_cmp_eq_u32_e32 vcc, s10, v8
	s_nop 1
	v_cndmask_b32_e32 v5, v6, v5, vcc
	v_cmp_eq_u32_e32 vcc, s10, v13
	v_bitop3_b32 v5, v9, s17, v5 bitop3:0xc8
	s_nop 0
	v_cndmask_b32_e32 v6, v12, v10, vcc
	v_and_or_b32 v6, v11, s14, v6
	v_lshl_or_b32 v5, v6, 16, v5
	global_store_dword v[2:3], v5, off
	global_load_dword v5, v23, s[12:13] offset:1760
	v_lshrrev_b32_e32 v6, 16, v7
	v_mad_u64_u32 v[2:3], s[0:1], s8, v1, v[2:3]
	v_add_u32_e32 v3, s9, v3
	s_waitcnt vmcnt(0)
	v_mul_f16_sdwa v8, v6, v5 dst_sel:DWORD dst_unused:UNUSED_PAD src0_sel:DWORD src1_sel:WORD_1
	v_mul_f16_sdwa v9, v7, v5 dst_sel:DWORD dst_unused:UNUSED_PAD src0_sel:DWORD src1_sel:WORD_1
	v_fma_f16 v7, v7, v5, v8
	v_fma_f16 v5, v5, v6, -v9
	v_cvt_f32_f16_e32 v6, v7
	v_cvt_f32_f16_e32 v5, v5
	v_cvt_f64_f32_e32 v[6:7], v6
	v_cvt_f64_f32_e32 v[8:9], v5
	v_mul_f64 v[6:7], v[6:7], s[6:7]
	v_mul_f64 v[8:9], v[8:9], s[6:7]
	v_and_or_b32 v5, v7, s16, v6
	v_and_or_b32 v8, v9, s16, v8
	v_cmp_ne_u32_e32 vcc, 0, v5
	v_lshrrev_b32_e32 v6, 8, v7
	v_bfe_u32 v10, v7, 20, 11
	v_cndmask_b32_e64 v5, 0, 1, vcc
	v_cmp_ne_u32_e32 vcc, 0, v8
	v_lshrrev_b32_e32 v11, 8, v9
	v_bfe_u32 v12, v9, 20, 11
	v_sub_u32_e32 v13, 0x3f1, v10
	v_cndmask_b32_e64 v8, 0, 1, vcc
	v_and_or_b32 v5, v6, s15, v5
	v_sub_u32_e32 v14, 0x3f1, v12
	v_med3_i32 v6, v13, 0, 13
	v_and_or_b32 v8, v11, s15, v8
	v_or_b32_e32 v13, 0x1000, v5
	v_add_u32_e32 v10, 0xfffffc10, v10
	v_med3_i32 v11, v14, 0, 13
	v_cmp_ne_u32_e32 vcc, 0, v5
	v_or_b32_e32 v15, 0x1000, v8
	v_lshrrev_b32_e32 v17, v6, v13
	v_add_u32_e32 v12, 0xfffffc10, v12
	v_lshl_or_b32 v14, v10, 12, v5
	v_cndmask_b32_e64 v5, 0, 1, vcc
	v_cmp_ne_u32_e32 vcc, 0, v8
	v_lshrrev_b32_e32 v18, v11, v15
	v_lshlrev_b32_e32 v6, v6, v17
	v_lshl_or_b32 v16, v12, 12, v8
	v_cndmask_b32_e64 v8, 0, 1, vcc
	v_lshlrev_b32_e32 v11, v11, v18
	v_cmp_ne_u32_e32 vcc, v6, v13
	v_lshl_or_b32 v5, v5, 9, v0
	v_lshl_or_b32 v8, v8, 9, v0
	v_cndmask_b32_e64 v6, 0, 1, vcc
	v_cmp_ne_u32_e32 vcc, v11, v15
	v_or_b32_e32 v6, v17, v6
	v_and_b32_sdwa v7, v7, s14 dst_sel:DWORD dst_unused:UNUSED_PAD src0_sel:WORD_1 src1_sel:DWORD
	v_cndmask_b32_e64 v11, 0, 1, vcc
	v_cmp_gt_i32_e32 vcc, 1, v10
	v_or_b32_e32 v11, v18, v11
	v_lshrrev_b32_e32 v9, 16, v9
	v_cndmask_b32_e32 v6, v14, v6, vcc
	v_cmp_gt_i32_e32 vcc, 1, v12
	v_and_b32_e32 v13, 7, v6
	v_cmp_eq_u32_e64 s[0:1], 3, v13
	v_cndmask_b32_e32 v11, v16, v11, vcc
	v_cmp_lt_i32_e32 vcc, 5, v13
	v_lshrrev_b32_e32 v6, 2, v6
	v_and_b32_e32 v14, 7, v11
	s_or_b64 vcc, s[0:1], vcc
	v_cmp_lt_i32_e64 s[2:3], 5, v14
	v_cmp_eq_u32_e64 s[4:5], 3, v14
	v_addc_co_u32_e32 v6, vcc, 0, v6, vcc
	v_lshrrev_b32_e32 v11, 2, v11
	s_or_b64 vcc, s[4:5], s[2:3]
	v_addc_co_u32_e32 v11, vcc, 0, v11, vcc
	v_cmp_gt_i32_e32 vcc, 31, v10
	s_nop 1
	v_cndmask_b32_e32 v6, v0, v6, vcc
	v_cmp_gt_i32_e32 vcc, 31, v12
	s_nop 1
	v_cndmask_b32_e32 v11, v0, v11, vcc
	v_cmp_eq_u32_e32 vcc, s10, v10
	s_nop 1
	v_cndmask_b32_e32 v5, v6, v5, vcc
	v_cmp_eq_u32_e32 vcc, s10, v12
	v_bitop3_b32 v5, v7, s17, v5 bitop3:0xc8
	s_nop 0
	v_cndmask_b32_e32 v6, v11, v8, vcc
	v_and_or_b32 v6, v9, s14, v6
	v_lshl_or_b32 v5, v6, 16, v5
	global_store_dword v[2:3], v5, off
	global_load_dword v5, v23, s[12:13] offset:1980
	v_add_u32_e32 v6, 0x600, v4
	ds_read2_b32 v[6:7], v6 offset0:111 offset1:166
	v_mad_u64_u32 v[2:3], s[0:1], s8, v1, v[2:3]
	v_add_u32_e32 v3, s9, v3
	s_waitcnt lgkmcnt(0)
	v_lshrrev_b32_e32 v8, 16, v6
	s_waitcnt vmcnt(0)
	v_mul_f16_sdwa v9, v8, v5 dst_sel:DWORD dst_unused:UNUSED_PAD src0_sel:DWORD src1_sel:WORD_1
	v_mul_f16_sdwa v10, v6, v5 dst_sel:DWORD dst_unused:UNUSED_PAD src0_sel:DWORD src1_sel:WORD_1
	v_fma_f16 v6, v6, v5, v9
	v_fma_f16 v5, v5, v8, -v10
	v_cvt_f32_f16_e32 v6, v6
	v_cvt_f32_f16_e32 v5, v5
	v_cvt_f64_f32_e32 v[8:9], v6
	v_cvt_f64_f32_e32 v[10:11], v5
	v_mul_f64 v[8:9], v[8:9], s[6:7]
	v_mul_f64 v[10:11], v[10:11], s[6:7]
	v_and_or_b32 v5, v9, s16, v8
	v_and_or_b32 v10, v11, s16, v10
	v_cmp_ne_u32_e32 vcc, 0, v5
	v_lshrrev_b32_e32 v6, 8, v9
	v_bfe_u32 v8, v9, 20, 11
	v_cndmask_b32_e64 v5, 0, 1, vcc
	v_cmp_ne_u32_e32 vcc, 0, v10
	v_lshrrev_b32_e32 v12, 8, v11
	v_bfe_u32 v13, v11, 20, 11
	v_sub_u32_e32 v14, 0x3f1, v8
	v_cndmask_b32_e64 v10, 0, 1, vcc
	v_and_or_b32 v5, v6, s15, v5
	v_sub_u32_e32 v15, 0x3f1, v13
	v_med3_i32 v6, v14, 0, 13
	v_and_or_b32 v10, v12, s15, v10
	v_or_b32_e32 v14, 0x1000, v5
	v_add_u32_e32 v8, 0xfffffc10, v8
	v_med3_i32 v12, v15, 0, 13
	v_cmp_ne_u32_e32 vcc, 0, v5
	v_or_b32_e32 v16, 0x1000, v10
	v_lshrrev_b32_e32 v18, v6, v14
	v_add_u32_e32 v13, 0xfffffc10, v13
	v_lshl_or_b32 v15, v8, 12, v5
	v_cndmask_b32_e64 v5, 0, 1, vcc
	v_cmp_ne_u32_e32 vcc, 0, v10
	v_lshrrev_b32_e32 v19, v12, v16
	v_lshlrev_b32_e32 v6, v6, v18
	v_lshl_or_b32 v17, v13, 12, v10
	v_cndmask_b32_e64 v10, 0, 1, vcc
	v_lshlrev_b32_e32 v12, v12, v19
	v_cmp_ne_u32_e32 vcc, v6, v14
	v_lshl_or_b32 v5, v5, 9, v0
	v_lshl_or_b32 v10, v10, 9, v0
	v_cndmask_b32_e64 v6, 0, 1, vcc
	v_cmp_ne_u32_e32 vcc, v12, v16
	v_or_b32_e32 v6, v18, v6
	v_and_b32_sdwa v9, v9, s14 dst_sel:DWORD dst_unused:UNUSED_PAD src0_sel:WORD_1 src1_sel:DWORD
	v_cndmask_b32_e64 v12, 0, 1, vcc
	v_cmp_gt_i32_e32 vcc, 1, v8
	v_or_b32_e32 v12, v19, v12
	v_lshrrev_b32_e32 v11, 16, v11
	v_cndmask_b32_e32 v6, v15, v6, vcc
	v_cmp_gt_i32_e32 vcc, 1, v13
	v_and_b32_e32 v14, 7, v6
	v_cmp_eq_u32_e64 s[0:1], 3, v14
	v_cndmask_b32_e32 v12, v17, v12, vcc
	v_cmp_lt_i32_e32 vcc, 5, v14
	v_lshrrev_b32_e32 v6, 2, v6
	v_and_b32_e32 v15, 7, v12
	s_or_b64 vcc, s[0:1], vcc
	v_cmp_lt_i32_e64 s[2:3], 5, v15
	v_cmp_eq_u32_e64 s[4:5], 3, v15
	v_addc_co_u32_e32 v6, vcc, 0, v6, vcc
	v_lshrrev_b32_e32 v12, 2, v12
	s_or_b64 vcc, s[4:5], s[2:3]
	v_addc_co_u32_e32 v12, vcc, 0, v12, vcc
	v_cmp_gt_i32_e32 vcc, 31, v8
	s_nop 1
	v_cndmask_b32_e32 v6, v0, v6, vcc
	v_cmp_gt_i32_e32 vcc, 31, v13
	s_nop 1
	v_cndmask_b32_e32 v12, v0, v12, vcc
	v_cmp_eq_u32_e32 vcc, s10, v8
	s_nop 1
	v_cndmask_b32_e32 v5, v6, v5, vcc
	v_cmp_eq_u32_e32 vcc, s10, v13
	v_bitop3_b32 v5, v9, s17, v5 bitop3:0xc8
	s_nop 0
	v_cndmask_b32_e32 v6, v12, v10, vcc
	v_and_or_b32 v6, v11, s14, v6
	v_lshl_or_b32 v5, v6, 16, v5
	global_store_dword v[2:3], v5, off
	global_load_dword v5, v23, s[12:13] offset:2200
	v_lshrrev_b32_e32 v6, 16, v7
	v_mad_u64_u32 v[2:3], s[0:1], s8, v1, v[2:3]
	v_add_u32_e32 v3, s9, v3
	s_waitcnt vmcnt(0)
	v_mul_f16_sdwa v8, v6, v5 dst_sel:DWORD dst_unused:UNUSED_PAD src0_sel:DWORD src1_sel:WORD_1
	v_mul_f16_sdwa v9, v7, v5 dst_sel:DWORD dst_unused:UNUSED_PAD src0_sel:DWORD src1_sel:WORD_1
	v_fma_f16 v7, v7, v5, v8
	v_fma_f16 v5, v5, v6, -v9
	v_cvt_f32_f16_e32 v6, v7
	v_cvt_f32_f16_e32 v5, v5
	v_cvt_f64_f32_e32 v[6:7], v6
	v_cvt_f64_f32_e32 v[8:9], v5
	v_mul_f64 v[6:7], v[6:7], s[6:7]
	v_mul_f64 v[8:9], v[8:9], s[6:7]
	v_and_or_b32 v5, v7, s16, v6
	v_and_or_b32 v8, v9, s16, v8
	v_cmp_ne_u32_e32 vcc, 0, v5
	v_lshrrev_b32_e32 v6, 8, v7
	v_bfe_u32 v10, v7, 20, 11
	v_cndmask_b32_e64 v5, 0, 1, vcc
	v_cmp_ne_u32_e32 vcc, 0, v8
	v_lshrrev_b32_e32 v11, 8, v9
	v_bfe_u32 v12, v9, 20, 11
	v_sub_u32_e32 v13, 0x3f1, v10
	v_cndmask_b32_e64 v8, 0, 1, vcc
	v_and_or_b32 v5, v6, s15, v5
	v_sub_u32_e32 v14, 0x3f1, v12
	v_med3_i32 v6, v13, 0, 13
	v_and_or_b32 v8, v11, s15, v8
	v_or_b32_e32 v13, 0x1000, v5
	v_add_u32_e32 v10, 0xfffffc10, v10
	v_med3_i32 v11, v14, 0, 13
	v_cmp_ne_u32_e32 vcc, 0, v5
	v_or_b32_e32 v15, 0x1000, v8
	v_lshrrev_b32_e32 v17, v6, v13
	v_add_u32_e32 v12, 0xfffffc10, v12
	v_lshl_or_b32 v14, v10, 12, v5
	v_cndmask_b32_e64 v5, 0, 1, vcc
	v_cmp_ne_u32_e32 vcc, 0, v8
	v_lshrrev_b32_e32 v18, v11, v15
	v_lshlrev_b32_e32 v6, v6, v17
	v_lshl_or_b32 v16, v12, 12, v8
	v_cndmask_b32_e64 v8, 0, 1, vcc
	v_lshlrev_b32_e32 v11, v11, v18
	v_cmp_ne_u32_e32 vcc, v6, v13
	v_lshl_or_b32 v5, v5, 9, v0
	v_lshl_or_b32 v8, v8, 9, v0
	v_cndmask_b32_e64 v6, 0, 1, vcc
	v_cmp_ne_u32_e32 vcc, v11, v15
	v_or_b32_e32 v6, v17, v6
	v_and_b32_sdwa v7, v7, s14 dst_sel:DWORD dst_unused:UNUSED_PAD src0_sel:WORD_1 src1_sel:DWORD
	v_cndmask_b32_e64 v11, 0, 1, vcc
	v_cmp_gt_i32_e32 vcc, 1, v10
	v_or_b32_e32 v11, v18, v11
	v_lshrrev_b32_e32 v9, 16, v9
	v_cndmask_b32_e32 v6, v14, v6, vcc
	v_cmp_gt_i32_e32 vcc, 1, v12
	v_and_b32_e32 v13, 7, v6
	v_cmp_eq_u32_e64 s[0:1], 3, v13
	v_cndmask_b32_e32 v11, v16, v11, vcc
	v_cmp_lt_i32_e32 vcc, 5, v13
	v_lshrrev_b32_e32 v6, 2, v6
	v_and_b32_e32 v14, 7, v11
	s_or_b64 vcc, s[0:1], vcc
	v_cmp_lt_i32_e64 s[2:3], 5, v14
	v_cmp_eq_u32_e64 s[4:5], 3, v14
	v_addc_co_u32_e32 v6, vcc, 0, v6, vcc
	v_lshrrev_b32_e32 v11, 2, v11
	s_or_b64 vcc, s[4:5], s[2:3]
	v_addc_co_u32_e32 v11, vcc, 0, v11, vcc
	v_cmp_gt_i32_e32 vcc, 31, v10
	s_nop 1
	v_cndmask_b32_e32 v6, v0, v6, vcc
	v_cmp_gt_i32_e32 vcc, 31, v12
	s_nop 1
	v_cndmask_b32_e32 v11, v0, v11, vcc
	v_cmp_eq_u32_e32 vcc, s10, v10
	s_nop 1
	v_cndmask_b32_e32 v5, v6, v5, vcc
	v_cmp_eq_u32_e32 vcc, s10, v12
	v_bitop3_b32 v5, v7, s17, v5 bitop3:0xc8
	s_nop 0
	v_cndmask_b32_e32 v6, v11, v8, vcc
	v_and_or_b32 v6, v9, s14, v6
	v_lshl_or_b32 v5, v6, 16, v5
	global_store_dword v[2:3], v5, off
	global_load_dword v5, v23, s[12:13] offset:2420
	v_add_u32_e32 v6, 0x800, v4
	ds_read2_b32 v[6:7], v6 offset0:93 offset1:148
	v_mad_u64_u32 v[2:3], s[0:1], s8, v1, v[2:3]
	v_add_u32_e32 v3, s9, v3
	s_waitcnt lgkmcnt(0)
	v_lshrrev_b32_e32 v8, 16, v6
	s_waitcnt vmcnt(0)
	v_mul_f16_sdwa v9, v8, v5 dst_sel:DWORD dst_unused:UNUSED_PAD src0_sel:DWORD src1_sel:WORD_1
	v_mul_f16_sdwa v10, v6, v5 dst_sel:DWORD dst_unused:UNUSED_PAD src0_sel:DWORD src1_sel:WORD_1
	v_fma_f16 v6, v6, v5, v9
	v_fma_f16 v5, v5, v8, -v10
	v_cvt_f32_f16_e32 v6, v6
	v_cvt_f32_f16_e32 v5, v5
	v_cvt_f64_f32_e32 v[8:9], v6
	v_cvt_f64_f32_e32 v[10:11], v5
	v_mul_f64 v[8:9], v[8:9], s[6:7]
	v_mul_f64 v[10:11], v[10:11], s[6:7]
	v_and_or_b32 v5, v9, s16, v8
	v_and_or_b32 v10, v11, s16, v10
	v_cmp_ne_u32_e32 vcc, 0, v5
	v_lshrrev_b32_e32 v6, 8, v9
	v_bfe_u32 v8, v9, 20, 11
	v_cndmask_b32_e64 v5, 0, 1, vcc
	v_cmp_ne_u32_e32 vcc, 0, v10
	v_lshrrev_b32_e32 v12, 8, v11
	v_bfe_u32 v13, v11, 20, 11
	v_sub_u32_e32 v14, 0x3f1, v8
	v_cndmask_b32_e64 v10, 0, 1, vcc
	v_and_or_b32 v5, v6, s15, v5
	v_sub_u32_e32 v15, 0x3f1, v13
	v_med3_i32 v6, v14, 0, 13
	v_and_or_b32 v10, v12, s15, v10
	v_or_b32_e32 v14, 0x1000, v5
	v_add_u32_e32 v8, 0xfffffc10, v8
	v_med3_i32 v12, v15, 0, 13
	v_cmp_ne_u32_e32 vcc, 0, v5
	v_or_b32_e32 v16, 0x1000, v10
	v_lshrrev_b32_e32 v18, v6, v14
	v_add_u32_e32 v13, 0xfffffc10, v13
	v_lshl_or_b32 v15, v8, 12, v5
	v_cndmask_b32_e64 v5, 0, 1, vcc
	v_cmp_ne_u32_e32 vcc, 0, v10
	v_lshrrev_b32_e32 v19, v12, v16
	v_lshlrev_b32_e32 v6, v6, v18
	v_lshl_or_b32 v17, v13, 12, v10
	v_cndmask_b32_e64 v10, 0, 1, vcc
	v_lshlrev_b32_e32 v12, v12, v19
	v_cmp_ne_u32_e32 vcc, v6, v14
	v_lshl_or_b32 v5, v5, 9, v0
	v_lshl_or_b32 v10, v10, 9, v0
	v_cndmask_b32_e64 v6, 0, 1, vcc
	v_cmp_ne_u32_e32 vcc, v12, v16
	v_or_b32_e32 v6, v18, v6
	v_and_b32_sdwa v9, v9, s14 dst_sel:DWORD dst_unused:UNUSED_PAD src0_sel:WORD_1 src1_sel:DWORD
	v_cndmask_b32_e64 v12, 0, 1, vcc
	v_cmp_gt_i32_e32 vcc, 1, v8
	v_or_b32_e32 v12, v19, v12
	v_lshrrev_b32_e32 v11, 16, v11
	v_cndmask_b32_e32 v6, v15, v6, vcc
	v_cmp_gt_i32_e32 vcc, 1, v13
	v_and_b32_e32 v14, 7, v6
	v_cmp_eq_u32_e64 s[0:1], 3, v14
	v_cndmask_b32_e32 v12, v17, v12, vcc
	v_cmp_lt_i32_e32 vcc, 5, v14
	v_lshrrev_b32_e32 v6, 2, v6
	v_and_b32_e32 v15, 7, v12
	s_or_b64 vcc, s[0:1], vcc
	v_cmp_lt_i32_e64 s[2:3], 5, v15
	v_cmp_eq_u32_e64 s[4:5], 3, v15
	v_addc_co_u32_e32 v6, vcc, 0, v6, vcc
	v_lshrrev_b32_e32 v12, 2, v12
	s_or_b64 vcc, s[4:5], s[2:3]
	v_addc_co_u32_e32 v12, vcc, 0, v12, vcc
	v_cmp_gt_i32_e32 vcc, 31, v8
	s_nop 1
	v_cndmask_b32_e32 v6, v0, v6, vcc
	v_cmp_gt_i32_e32 vcc, 31, v13
	s_nop 1
	v_cndmask_b32_e32 v12, v0, v12, vcc
	v_cmp_eq_u32_e32 vcc, s10, v8
	s_nop 1
	v_cndmask_b32_e32 v5, v6, v5, vcc
	v_cmp_eq_u32_e32 vcc, s10, v13
	v_bitop3_b32 v5, v9, s17, v5 bitop3:0xc8
	s_nop 0
	v_cndmask_b32_e32 v6, v12, v10, vcc
	v_and_or_b32 v6, v11, s14, v6
	v_lshl_or_b32 v5, v6, 16, v5
	global_store_dword v[2:3], v5, off
	global_load_dword v5, v23, s[12:13] offset:2640
	v_lshrrev_b32_e32 v6, 16, v7
	v_mad_u64_u32 v[2:3], s[0:1], s8, v1, v[2:3]
	v_add_u32_e32 v3, s9, v3
	s_waitcnt vmcnt(0)
	v_mul_f16_sdwa v8, v6, v5 dst_sel:DWORD dst_unused:UNUSED_PAD src0_sel:DWORD src1_sel:WORD_1
	v_mul_f16_sdwa v9, v7, v5 dst_sel:DWORD dst_unused:UNUSED_PAD src0_sel:DWORD src1_sel:WORD_1
	v_fma_f16 v7, v7, v5, v8
	v_fma_f16 v5, v5, v6, -v9
	v_cvt_f32_f16_e32 v6, v7
	v_cvt_f32_f16_e32 v5, v5
	v_cvt_f64_f32_e32 v[6:7], v6
	v_cvt_f64_f32_e32 v[8:9], v5
	v_mul_f64 v[6:7], v[6:7], s[6:7]
	v_mul_f64 v[8:9], v[8:9], s[6:7]
	v_and_or_b32 v5, v7, s16, v6
	v_and_or_b32 v8, v9, s16, v8
	v_cmp_ne_u32_e32 vcc, 0, v5
	v_lshrrev_b32_e32 v6, 8, v7
	v_bfe_u32 v10, v7, 20, 11
	v_cndmask_b32_e64 v5, 0, 1, vcc
	v_cmp_ne_u32_e32 vcc, 0, v8
	v_lshrrev_b32_e32 v11, 8, v9
	v_bfe_u32 v12, v9, 20, 11
	v_sub_u32_e32 v13, 0x3f1, v10
	v_cndmask_b32_e64 v8, 0, 1, vcc
	v_and_or_b32 v5, v6, s15, v5
	v_sub_u32_e32 v14, 0x3f1, v12
	v_med3_i32 v6, v13, 0, 13
	v_and_or_b32 v8, v11, s15, v8
	v_or_b32_e32 v13, 0x1000, v5
	v_add_u32_e32 v10, 0xfffffc10, v10
	v_med3_i32 v11, v14, 0, 13
	v_cmp_ne_u32_e32 vcc, 0, v5
	v_or_b32_e32 v15, 0x1000, v8
	v_lshrrev_b32_e32 v17, v6, v13
	v_add_u32_e32 v12, 0xfffffc10, v12
	v_lshl_or_b32 v14, v10, 12, v5
	v_cndmask_b32_e64 v5, 0, 1, vcc
	v_cmp_ne_u32_e32 vcc, 0, v8
	v_lshrrev_b32_e32 v18, v11, v15
	v_lshlrev_b32_e32 v6, v6, v17
	v_lshl_or_b32 v16, v12, 12, v8
	v_cndmask_b32_e64 v8, 0, 1, vcc
	v_lshlrev_b32_e32 v11, v11, v18
	v_cmp_ne_u32_e32 vcc, v6, v13
	v_lshl_or_b32 v5, v5, 9, v0
	v_lshl_or_b32 v8, v8, 9, v0
	v_cndmask_b32_e64 v6, 0, 1, vcc
	v_cmp_ne_u32_e32 vcc, v11, v15
	v_or_b32_e32 v6, v17, v6
	v_and_b32_sdwa v7, v7, s14 dst_sel:DWORD dst_unused:UNUSED_PAD src0_sel:WORD_1 src1_sel:DWORD
	v_cndmask_b32_e64 v11, 0, 1, vcc
	v_cmp_gt_i32_e32 vcc, 1, v10
	v_or_b32_e32 v11, v18, v11
	v_lshrrev_b32_e32 v9, 16, v9
	v_cndmask_b32_e32 v6, v14, v6, vcc
	v_cmp_gt_i32_e32 vcc, 1, v12
	v_and_b32_e32 v13, 7, v6
	v_cmp_eq_u32_e64 s[0:1], 3, v13
	v_cndmask_b32_e32 v11, v16, v11, vcc
	v_cmp_lt_i32_e32 vcc, 5, v13
	v_lshrrev_b32_e32 v6, 2, v6
	v_and_b32_e32 v14, 7, v11
	s_or_b64 vcc, s[0:1], vcc
	v_cmp_lt_i32_e64 s[2:3], 5, v14
	v_cmp_eq_u32_e64 s[4:5], 3, v14
	v_addc_co_u32_e32 v6, vcc, 0, v6, vcc
	v_lshrrev_b32_e32 v11, 2, v11
	s_or_b64 vcc, s[4:5], s[2:3]
	v_addc_co_u32_e32 v11, vcc, 0, v11, vcc
	v_cmp_gt_i32_e32 vcc, 31, v10
	s_nop 1
	v_cndmask_b32_e32 v6, v0, v6, vcc
	v_cmp_gt_i32_e32 vcc, 31, v12
	s_nop 1
	v_cndmask_b32_e32 v11, v0, v11, vcc
	v_cmp_eq_u32_e32 vcc, s10, v10
	s_nop 1
	v_cndmask_b32_e32 v5, v6, v5, vcc
	v_cmp_eq_u32_e32 vcc, s10, v12
	v_bitop3_b32 v5, v7, s17, v5 bitop3:0xc8
	s_nop 0
	v_cndmask_b32_e32 v6, v11, v8, vcc
	v_and_or_b32 v6, v9, s14, v6
	v_lshl_or_b32 v5, v6, 16, v5
	global_store_dword v[2:3], v5, off
	global_load_dword v5, v23, s[12:13] offset:2860
	v_add_u32_e32 v6, 0xa00, v4
	ds_read2_b32 v[6:7], v6 offset0:75 offset1:130
	v_mad_u64_u32 v[2:3], s[0:1], s8, v1, v[2:3]
	v_add_u32_e32 v3, s9, v3
	v_add_u32_e32 v4, 0xc00, v4
	s_waitcnt lgkmcnt(0)
	v_lshrrev_b32_e32 v8, 16, v6
	s_waitcnt vmcnt(0)
	v_mul_f16_sdwa v9, v8, v5 dst_sel:DWORD dst_unused:UNUSED_PAD src0_sel:DWORD src1_sel:WORD_1
	v_mul_f16_sdwa v10, v6, v5 dst_sel:DWORD dst_unused:UNUSED_PAD src0_sel:DWORD src1_sel:WORD_1
	v_fma_f16 v6, v6, v5, v9
	v_fma_f16 v5, v5, v8, -v10
	v_cvt_f32_f16_e32 v6, v6
	v_cvt_f32_f16_e32 v5, v5
	v_cvt_f64_f32_e32 v[8:9], v6
	v_cvt_f64_f32_e32 v[10:11], v5
	v_mul_f64 v[8:9], v[8:9], s[6:7]
	v_mul_f64 v[10:11], v[10:11], s[6:7]
	v_and_or_b32 v5, v9, s16, v8
	v_and_or_b32 v10, v11, s16, v10
	v_cmp_ne_u32_e32 vcc, 0, v5
	v_lshrrev_b32_e32 v6, 8, v9
	v_bfe_u32 v8, v9, 20, 11
	v_cndmask_b32_e64 v5, 0, 1, vcc
	v_cmp_ne_u32_e32 vcc, 0, v10
	v_lshrrev_b32_e32 v12, 8, v11
	v_bfe_u32 v13, v11, 20, 11
	v_sub_u32_e32 v14, 0x3f1, v8
	v_cndmask_b32_e64 v10, 0, 1, vcc
	v_and_or_b32 v5, v6, s15, v5
	v_sub_u32_e32 v15, 0x3f1, v13
	v_med3_i32 v6, v14, 0, 13
	v_and_or_b32 v10, v12, s15, v10
	v_or_b32_e32 v14, 0x1000, v5
	v_add_u32_e32 v8, 0xfffffc10, v8
	v_med3_i32 v12, v15, 0, 13
	v_cmp_ne_u32_e32 vcc, 0, v5
	v_or_b32_e32 v16, 0x1000, v10
	v_lshrrev_b32_e32 v18, v6, v14
	v_add_u32_e32 v13, 0xfffffc10, v13
	v_lshl_or_b32 v15, v8, 12, v5
	v_cndmask_b32_e64 v5, 0, 1, vcc
	v_cmp_ne_u32_e32 vcc, 0, v10
	v_lshrrev_b32_e32 v19, v12, v16
	v_lshlrev_b32_e32 v6, v6, v18
	v_lshl_or_b32 v17, v13, 12, v10
	v_cndmask_b32_e64 v10, 0, 1, vcc
	v_lshlrev_b32_e32 v12, v12, v19
	v_cmp_ne_u32_e32 vcc, v6, v14
	v_lshl_or_b32 v5, v5, 9, v0
	v_lshl_or_b32 v10, v10, 9, v0
	v_cndmask_b32_e64 v6, 0, 1, vcc
	v_cmp_ne_u32_e32 vcc, v12, v16
	v_or_b32_e32 v6, v18, v6
	v_and_b32_sdwa v9, v9, s14 dst_sel:DWORD dst_unused:UNUSED_PAD src0_sel:WORD_1 src1_sel:DWORD
	v_cndmask_b32_e64 v12, 0, 1, vcc
	v_cmp_gt_i32_e32 vcc, 1, v8
	v_or_b32_e32 v12, v19, v12
	v_lshrrev_b32_e32 v11, 16, v11
	v_cndmask_b32_e32 v6, v15, v6, vcc
	v_cmp_gt_i32_e32 vcc, 1, v13
	v_and_b32_e32 v14, 7, v6
	v_cmp_eq_u32_e64 s[0:1], 3, v14
	v_cndmask_b32_e32 v12, v17, v12, vcc
	v_cmp_lt_i32_e32 vcc, 5, v14
	v_lshrrev_b32_e32 v6, 2, v6
	v_and_b32_e32 v15, 7, v12
	s_or_b64 vcc, s[0:1], vcc
	v_cmp_lt_i32_e64 s[2:3], 5, v15
	v_cmp_eq_u32_e64 s[4:5], 3, v15
	v_addc_co_u32_e32 v6, vcc, 0, v6, vcc
	v_lshrrev_b32_e32 v12, 2, v12
	s_or_b64 vcc, s[4:5], s[2:3]
	v_addc_co_u32_e32 v12, vcc, 0, v12, vcc
	v_cmp_gt_i32_e32 vcc, 31, v8
	s_nop 1
	v_cndmask_b32_e32 v6, v0, v6, vcc
	v_cmp_gt_i32_e32 vcc, 31, v13
	s_nop 1
	v_cndmask_b32_e32 v12, v0, v12, vcc
	v_cmp_eq_u32_e32 vcc, s10, v8
	s_nop 1
	v_cndmask_b32_e32 v5, v6, v5, vcc
	v_cmp_eq_u32_e32 vcc, s10, v13
	v_bitop3_b32 v5, v9, s17, v5 bitop3:0xc8
	s_nop 0
	v_cndmask_b32_e32 v6, v12, v10, vcc
	v_and_or_b32 v6, v11, s14, v6
	v_lshl_or_b32 v5, v6, 16, v5
	global_store_dword v[2:3], v5, off
	global_load_dword v5, v23, s[12:13] offset:3080
	v_lshrrev_b32_e32 v6, 16, v7
	v_mad_u64_u32 v[2:3], s[0:1], s8, v1, v[2:3]
	v_add_u32_e32 v3, s9, v3
	s_waitcnt vmcnt(0)
	v_mul_f16_sdwa v8, v6, v5 dst_sel:DWORD dst_unused:UNUSED_PAD src0_sel:DWORD src1_sel:WORD_1
	v_mul_f16_sdwa v9, v7, v5 dst_sel:DWORD dst_unused:UNUSED_PAD src0_sel:DWORD src1_sel:WORD_1
	v_fma_f16 v7, v7, v5, v8
	v_fma_f16 v5, v5, v6, -v9
	v_cvt_f32_f16_e32 v6, v7
	v_cvt_f32_f16_e32 v5, v5
	v_cvt_f64_f32_e32 v[6:7], v6
	v_cvt_f64_f32_e32 v[8:9], v5
	v_mul_f64 v[6:7], v[6:7], s[6:7]
	v_mul_f64 v[8:9], v[8:9], s[6:7]
	v_and_or_b32 v5, v7, s16, v6
	v_and_or_b32 v8, v9, s16, v8
	v_cmp_ne_u32_e32 vcc, 0, v5
	v_lshrrev_b32_e32 v6, 8, v7
	v_bfe_u32 v10, v7, 20, 11
	v_cndmask_b32_e64 v5, 0, 1, vcc
	v_cmp_ne_u32_e32 vcc, 0, v8
	v_lshrrev_b32_e32 v11, 8, v9
	v_bfe_u32 v12, v9, 20, 11
	v_sub_u32_e32 v13, 0x3f1, v10
	v_cndmask_b32_e64 v8, 0, 1, vcc
	v_and_or_b32 v5, v6, s15, v5
	v_sub_u32_e32 v14, 0x3f1, v12
	v_med3_i32 v6, v13, 0, 13
	v_and_or_b32 v8, v11, s15, v8
	v_or_b32_e32 v13, 0x1000, v5
	v_add_u32_e32 v10, 0xfffffc10, v10
	v_med3_i32 v11, v14, 0, 13
	v_cmp_ne_u32_e32 vcc, 0, v5
	v_or_b32_e32 v15, 0x1000, v8
	v_lshrrev_b32_e32 v17, v6, v13
	v_add_u32_e32 v12, 0xfffffc10, v12
	v_lshl_or_b32 v14, v10, 12, v5
	v_cndmask_b32_e64 v5, 0, 1, vcc
	v_cmp_ne_u32_e32 vcc, 0, v8
	v_lshrrev_b32_e32 v18, v11, v15
	v_lshlrev_b32_e32 v6, v6, v17
	v_lshl_or_b32 v16, v12, 12, v8
	v_cndmask_b32_e64 v8, 0, 1, vcc
	v_lshlrev_b32_e32 v11, v11, v18
	v_cmp_ne_u32_e32 vcc, v6, v13
	v_lshl_or_b32 v5, v5, 9, v0
	v_lshl_or_b32 v8, v8, 9, v0
	v_cndmask_b32_e64 v6, 0, 1, vcc
	v_cmp_ne_u32_e32 vcc, v11, v15
	v_or_b32_e32 v6, v17, v6
	v_and_b32_sdwa v7, v7, s14 dst_sel:DWORD dst_unused:UNUSED_PAD src0_sel:WORD_1 src1_sel:DWORD
	v_cndmask_b32_e64 v11, 0, 1, vcc
	v_cmp_gt_i32_e32 vcc, 1, v10
	v_or_b32_e32 v11, v18, v11
	v_lshrrev_b32_e32 v9, 16, v9
	v_cndmask_b32_e32 v6, v14, v6, vcc
	v_cmp_gt_i32_e32 vcc, 1, v12
	v_and_b32_e32 v13, 7, v6
	v_cmp_eq_u32_e64 s[0:1], 3, v13
	v_cndmask_b32_e32 v11, v16, v11, vcc
	v_cmp_lt_i32_e32 vcc, 5, v13
	v_lshrrev_b32_e32 v6, 2, v6
	v_and_b32_e32 v14, 7, v11
	s_or_b64 vcc, s[0:1], vcc
	v_cmp_lt_i32_e64 s[2:3], 5, v14
	v_cmp_eq_u32_e64 s[4:5], 3, v14
	v_addc_co_u32_e32 v6, vcc, 0, v6, vcc
	v_lshrrev_b32_e32 v11, 2, v11
	s_or_b64 vcc, s[4:5], s[2:3]
	v_addc_co_u32_e32 v11, vcc, 0, v11, vcc
	v_cmp_gt_i32_e32 vcc, 31, v10
	s_nop 1
	v_cndmask_b32_e32 v6, v0, v6, vcc
	v_cmp_gt_i32_e32 vcc, 31, v12
	s_nop 1
	v_cndmask_b32_e32 v11, v0, v11, vcc
	v_cmp_eq_u32_e32 vcc, s10, v10
	s_nop 1
	v_cndmask_b32_e32 v5, v6, v5, vcc
	v_cmp_eq_u32_e32 vcc, s10, v12
	v_bitop3_b32 v5, v7, s17, v5 bitop3:0xc8
	s_nop 0
	v_cndmask_b32_e32 v6, v11, v8, vcc
	v_and_or_b32 v6, v9, s14, v6
	v_lshl_or_b32 v5, v6, 16, v5
	global_store_dword v[2:3], v5, off
	global_load_dword v6, v23, s[12:13] offset:3300
	ds_read2_b32 v[4:5], v4 offset0:57 offset1:112
	v_mad_u64_u32 v[2:3], s[0:1], s8, v1, v[2:3]
	v_add_u32_e32 v3, s9, v3
	s_waitcnt lgkmcnt(0)
	v_lshrrev_b32_e32 v7, 16, v4
	s_waitcnt vmcnt(0)
	v_mul_f16_sdwa v8, v7, v6 dst_sel:DWORD dst_unused:UNUSED_PAD src0_sel:DWORD src1_sel:WORD_1
	v_mul_f16_sdwa v9, v4, v6 dst_sel:DWORD dst_unused:UNUSED_PAD src0_sel:DWORD src1_sel:WORD_1
	v_fma_f16 v4, v4, v6, v8
	v_fma_f16 v6, v6, v7, -v9
	v_cvt_f32_f16_e32 v4, v4
	v_cvt_f32_f16_e32 v8, v6
	v_cvt_f64_f32_e32 v[6:7], v4
	v_cvt_f64_f32_e32 v[8:9], v8
	v_mul_f64 v[6:7], v[6:7], s[6:7]
	v_mul_f64 v[8:9], v[8:9], s[6:7]
	v_and_or_b32 v4, v7, s16, v6
	v_and_or_b32 v8, v9, s16, v8
	v_cmp_ne_u32_e32 vcc, 0, v4
	v_lshrrev_b32_e32 v6, 8, v7
	v_bfe_u32 v10, v7, 20, 11
	v_cndmask_b32_e64 v4, 0, 1, vcc
	v_cmp_ne_u32_e32 vcc, 0, v8
	v_lshrrev_b32_e32 v11, 8, v9
	v_bfe_u32 v12, v9, 20, 11
	v_sub_u32_e32 v13, 0x3f1, v10
	v_cndmask_b32_e64 v8, 0, 1, vcc
	v_and_or_b32 v4, v6, s15, v4
	v_sub_u32_e32 v14, 0x3f1, v12
	v_med3_i32 v6, v13, 0, 13
	v_and_or_b32 v8, v11, s15, v8
	v_or_b32_e32 v13, 0x1000, v4
	v_add_u32_e32 v10, 0xfffffc10, v10
	v_med3_i32 v11, v14, 0, 13
	v_cmp_ne_u32_e32 vcc, 0, v4
	v_or_b32_e32 v15, 0x1000, v8
	v_lshrrev_b32_e32 v17, v6, v13
	v_add_u32_e32 v12, 0xfffffc10, v12
	v_lshl_or_b32 v14, v10, 12, v4
	v_cndmask_b32_e64 v4, 0, 1, vcc
	v_cmp_ne_u32_e32 vcc, 0, v8
	v_lshrrev_b32_e32 v18, v11, v15
	v_lshlrev_b32_e32 v6, v6, v17
	v_lshl_or_b32 v16, v12, 12, v8
	v_cndmask_b32_e64 v8, 0, 1, vcc
	v_lshlrev_b32_e32 v11, v11, v18
	v_cmp_ne_u32_e32 vcc, v6, v13
	v_lshl_or_b32 v4, v4, 9, v0
	v_lshl_or_b32 v8, v8, 9, v0
	v_cndmask_b32_e64 v6, 0, 1, vcc
	v_cmp_ne_u32_e32 vcc, v11, v15
	v_or_b32_e32 v6, v17, v6
	v_and_b32_sdwa v7, v7, s14 dst_sel:DWORD dst_unused:UNUSED_PAD src0_sel:WORD_1 src1_sel:DWORD
	v_cndmask_b32_e64 v11, 0, 1, vcc
	v_cmp_gt_i32_e32 vcc, 1, v10
	v_or_b32_e32 v11, v18, v11
	v_lshrrev_b32_e32 v9, 16, v9
	v_cndmask_b32_e32 v6, v14, v6, vcc
	v_cmp_gt_i32_e32 vcc, 1, v12
	v_and_b32_e32 v13, 7, v6
	v_cmp_eq_u32_e64 s[0:1], 3, v13
	v_cndmask_b32_e32 v11, v16, v11, vcc
	v_cmp_lt_i32_e32 vcc, 5, v13
	v_lshrrev_b32_e32 v6, 2, v6
	v_and_b32_e32 v14, 7, v11
	s_or_b64 vcc, s[0:1], vcc
	v_cmp_lt_i32_e64 s[2:3], 5, v14
	v_cmp_eq_u32_e64 s[4:5], 3, v14
	v_addc_co_u32_e32 v6, vcc, 0, v6, vcc
	v_lshrrev_b32_e32 v11, 2, v11
	s_or_b64 vcc, s[4:5], s[2:3]
	v_addc_co_u32_e32 v11, vcc, 0, v11, vcc
	v_cmp_gt_i32_e32 vcc, 31, v10
	s_nop 1
	v_cndmask_b32_e32 v6, v0, v6, vcc
	v_cmp_gt_i32_e32 vcc, 31, v12
	s_nop 1
	v_cndmask_b32_e32 v11, v0, v11, vcc
	v_cmp_eq_u32_e32 vcc, s10, v10
	s_nop 1
	v_cndmask_b32_e32 v4, v6, v4, vcc
	v_cmp_eq_u32_e32 vcc, s10, v12
	v_bitop3_b32 v4, v7, s17, v4 bitop3:0xc8
	s_nop 0
	v_cndmask_b32_e32 v6, v11, v8, vcc
	v_and_or_b32 v6, v9, s14, v6
	v_lshl_or_b32 v4, v6, 16, v4
	global_store_dword v[2:3], v4, off
	global_load_dword v4, v23, s[12:13] offset:3520
	v_lshrrev_b32_e32 v6, 16, v5
	v_mad_u64_u32 v[2:3], s[0:1], s8, v1, v[2:3]
	v_add_u32_e32 v3, s9, v3
	s_waitcnt vmcnt(0)
	v_mul_f16_sdwa v7, v6, v4 dst_sel:DWORD dst_unused:UNUSED_PAD src0_sel:DWORD src1_sel:WORD_1
	v_mul_f16_sdwa v8, v5, v4 dst_sel:DWORD dst_unused:UNUSED_PAD src0_sel:DWORD src1_sel:WORD_1
	v_fma_f16 v5, v5, v4, v7
	v_fma_f16 v4, v4, v6, -v8
	v_cvt_f32_f16_e32 v5, v5
	v_cvt_f32_f16_e32 v6, v4
	v_cvt_f64_f32_e32 v[4:5], v5
	v_cvt_f64_f32_e32 v[6:7], v6
	v_mul_f64 v[4:5], v[4:5], s[6:7]
	v_mul_f64 v[6:7], v[6:7], s[6:7]
	v_and_or_b32 v1, v5, s16, v4
	v_and_or_b32 v6, v7, s16, v6
	v_cmp_ne_u32_e32 vcc, 0, v1
	v_lshrrev_b32_e32 v4, 8, v5
	v_bfe_u32 v8, v5, 20, 11
	v_cndmask_b32_e64 v1, 0, 1, vcc
	v_cmp_ne_u32_e32 vcc, 0, v6
	v_lshrrev_b32_e32 v9, 8, v7
	v_bfe_u32 v10, v7, 20, 11
	v_sub_u32_e32 v11, 0x3f1, v8
	v_cndmask_b32_e64 v6, 0, 1, vcc
	v_and_or_b32 v1, v4, s15, v1
	v_sub_u32_e32 v12, 0x3f1, v10
	v_med3_i32 v4, v11, 0, 13
	v_and_or_b32 v6, v9, s15, v6
	v_or_b32_e32 v11, 0x1000, v1
	v_add_u32_e32 v8, 0xfffffc10, v8
	v_med3_i32 v9, v12, 0, 13
	v_cmp_ne_u32_e32 vcc, 0, v1
	v_or_b32_e32 v13, 0x1000, v6
	v_lshrrev_b32_e32 v15, v4, v11
	v_add_u32_e32 v10, 0xfffffc10, v10
	v_lshl_or_b32 v12, v8, 12, v1
	v_cndmask_b32_e64 v1, 0, 1, vcc
	v_cmp_ne_u32_e32 vcc, 0, v6
	v_lshrrev_b32_e32 v16, v9, v13
	v_lshlrev_b32_e32 v4, v4, v15
	v_lshl_or_b32 v14, v10, 12, v6
	v_cndmask_b32_e64 v6, 0, 1, vcc
	v_lshlrev_b32_e32 v9, v9, v16
	v_cmp_ne_u32_e32 vcc, v4, v11
	v_lshl_or_b32 v1, v1, 9, v0
	v_lshl_or_b32 v6, v6, 9, v0
	v_cndmask_b32_e64 v4, 0, 1, vcc
	v_cmp_ne_u32_e32 vcc, v9, v13
	v_or_b32_e32 v4, v15, v4
	v_and_b32_sdwa v5, v5, s14 dst_sel:DWORD dst_unused:UNUSED_PAD src0_sel:WORD_1 src1_sel:DWORD
	v_cndmask_b32_e64 v9, 0, 1, vcc
	v_cmp_gt_i32_e32 vcc, 1, v8
	v_or_b32_e32 v9, v16, v9
	v_lshrrev_b32_e32 v7, 16, v7
	v_cndmask_b32_e32 v4, v12, v4, vcc
	v_cmp_gt_i32_e32 vcc, 1, v10
	v_and_b32_e32 v11, 7, v4
	v_cmp_eq_u32_e64 s[0:1], 3, v11
	v_cndmask_b32_e32 v9, v14, v9, vcc
	v_cmp_lt_i32_e32 vcc, 5, v11
	v_lshrrev_b32_e32 v4, 2, v4
	v_and_b32_e32 v12, 7, v9
	s_or_b64 vcc, s[0:1], vcc
	v_cmp_lt_i32_e64 s[2:3], 5, v12
	v_cmp_eq_u32_e64 s[4:5], 3, v12
	v_addc_co_u32_e32 v4, vcc, 0, v4, vcc
	v_lshrrev_b32_e32 v9, 2, v9
	s_or_b64 vcc, s[4:5], s[2:3]
	v_addc_co_u32_e32 v9, vcc, 0, v9, vcc
	v_cmp_gt_i32_e32 vcc, 31, v8
	s_nop 1
	v_cndmask_b32_e32 v4, v0, v4, vcc
	v_cmp_gt_i32_e32 vcc, 31, v10
	s_nop 1
	v_cndmask_b32_e32 v0, v0, v9, vcc
	v_cmp_eq_u32_e32 vcc, s10, v8
	s_nop 1
	v_cndmask_b32_e32 v1, v4, v1, vcc
	v_cmp_eq_u32_e32 vcc, s10, v10
	v_bitop3_b32 v1, v5, s17, v1 bitop3:0xc8
	s_nop 0
	v_cndmask_b32_e32 v0, v0, v6, vcc
	v_and_or_b32 v0, v7, s14, v0
	v_lshl_or_b32 v0, v0, 16, v1
	global_store_dword v[2:3], v0, off
.LBB0_23:
	s_endpgm
	.section	.rodata,"a",@progbits
	.p2align	6, 0x0
	.amdhsa_kernel bluestein_single_back_len935_dim1_half_op_CI_CI
		.amdhsa_group_segment_fixed_size 11220
		.amdhsa_private_segment_fixed_size 0
		.amdhsa_kernarg_size 104
		.amdhsa_user_sgpr_count 2
		.amdhsa_user_sgpr_dispatch_ptr 0
		.amdhsa_user_sgpr_queue_ptr 0
		.amdhsa_user_sgpr_kernarg_segment_ptr 1
		.amdhsa_user_sgpr_dispatch_id 0
		.amdhsa_user_sgpr_kernarg_preload_length 0
		.amdhsa_user_sgpr_kernarg_preload_offset 0
		.amdhsa_user_sgpr_private_segment_size 0
		.amdhsa_uses_dynamic_stack 0
		.amdhsa_enable_private_segment 0
		.amdhsa_system_sgpr_workgroup_id_x 1
		.amdhsa_system_sgpr_workgroup_id_y 0
		.amdhsa_system_sgpr_workgroup_id_z 0
		.amdhsa_system_sgpr_workgroup_info 0
		.amdhsa_system_vgpr_workitem_id 0
		.amdhsa_next_free_vgpr 270
		.amdhsa_next_free_sgpr 37
		.amdhsa_accum_offset 256
		.amdhsa_reserve_vcc 1
		.amdhsa_float_round_mode_32 0
		.amdhsa_float_round_mode_16_64 0
		.amdhsa_float_denorm_mode_32 3
		.amdhsa_float_denorm_mode_16_64 3
		.amdhsa_dx10_clamp 1
		.amdhsa_ieee_mode 1
		.amdhsa_fp16_overflow 0
		.amdhsa_tg_split 0
		.amdhsa_exception_fp_ieee_invalid_op 0
		.amdhsa_exception_fp_denorm_src 0
		.amdhsa_exception_fp_ieee_div_zero 0
		.amdhsa_exception_fp_ieee_overflow 0
		.amdhsa_exception_fp_ieee_underflow 0
		.amdhsa_exception_fp_ieee_inexact 0
		.amdhsa_exception_int_div_zero 0
	.end_amdhsa_kernel
	.text
.Lfunc_end0:
	.size	bluestein_single_back_len935_dim1_half_op_CI_CI, .Lfunc_end0-bluestein_single_back_len935_dim1_half_op_CI_CI
                                        ; -- End function
	.section	.AMDGPU.csdata,"",@progbits
; Kernel info:
; codeLenInByte = 31508
; NumSgprs: 43
; NumVgprs: 256
; NumAgprs: 14
; TotalNumVgprs: 270
; ScratchSize: 0
; MemoryBound: 0
; FloatMode: 240
; IeeeMode: 1
; LDSByteSize: 11220 bytes/workgroup (compile time only)
; SGPRBlocks: 5
; VGPRBlocks: 33
; NumSGPRsForWavesPerEU: 43
; NumVGPRsForWavesPerEU: 270
; AccumOffset: 256
; Occupancy: 1
; WaveLimiterHint : 1
; COMPUTE_PGM_RSRC2:SCRATCH_EN: 0
; COMPUTE_PGM_RSRC2:USER_SGPR: 2
; COMPUTE_PGM_RSRC2:TRAP_HANDLER: 0
; COMPUTE_PGM_RSRC2:TGID_X_EN: 1
; COMPUTE_PGM_RSRC2:TGID_Y_EN: 0
; COMPUTE_PGM_RSRC2:TGID_Z_EN: 0
; COMPUTE_PGM_RSRC2:TIDIG_COMP_CNT: 0
; COMPUTE_PGM_RSRC3_GFX90A:ACCUM_OFFSET: 63
; COMPUTE_PGM_RSRC3_GFX90A:TG_SPLIT: 0
	.text
	.p2alignl 6, 3212836864
	.fill 256, 4, 3212836864
	.type	__hip_cuid_ed580eb1cc8f9a64,@object ; @__hip_cuid_ed580eb1cc8f9a64
	.section	.bss,"aw",@nobits
	.globl	__hip_cuid_ed580eb1cc8f9a64
__hip_cuid_ed580eb1cc8f9a64:
	.byte	0                               ; 0x0
	.size	__hip_cuid_ed580eb1cc8f9a64, 1

	.ident	"AMD clang version 19.0.0git (https://github.com/RadeonOpenCompute/llvm-project roc-6.4.0 25133 c7fe45cf4b819c5991fe208aaa96edf142730f1d)"
	.section	".note.GNU-stack","",@progbits
	.addrsig
	.addrsig_sym __hip_cuid_ed580eb1cc8f9a64
	.amdgpu_metadata
---
amdhsa.kernels:
  - .agpr_count:     14
    .args:
      - .actual_access:  read_only
        .address_space:  global
        .offset:         0
        .size:           8
        .value_kind:     global_buffer
      - .actual_access:  read_only
        .address_space:  global
        .offset:         8
        .size:           8
        .value_kind:     global_buffer
      - .actual_access:  read_only
        .address_space:  global
        .offset:         16
        .size:           8
        .value_kind:     global_buffer
      - .actual_access:  read_only
        .address_space:  global
        .offset:         24
        .size:           8
        .value_kind:     global_buffer
      - .actual_access:  read_only
        .address_space:  global
        .offset:         32
        .size:           8
        .value_kind:     global_buffer
      - .offset:         40
        .size:           8
        .value_kind:     by_value
      - .address_space:  global
        .offset:         48
        .size:           8
        .value_kind:     global_buffer
      - .address_space:  global
        .offset:         56
        .size:           8
        .value_kind:     global_buffer
      - .address_space:  global
        .offset:         64
        .size:           8
        .value_kind:     global_buffer
      - .address_space:  global
        .offset:         72
        .size:           8
        .value_kind:     global_buffer
      - .offset:         80
        .size:           4
        .value_kind:     by_value
      - .address_space:  global
        .offset:         88
        .size:           8
        .value_kind:     global_buffer
      - .address_space:  global
        .offset:         96
        .size:           8
        .value_kind:     global_buffer
    .group_segment_fixed_size: 11220
    .kernarg_segment_align: 8
    .kernarg_segment_size: 104
    .language:       OpenCL C
    .language_version:
      - 2
      - 0
    .max_flat_workgroup_size: 255
    .name:           bluestein_single_back_len935_dim1_half_op_CI_CI
    .private_segment_fixed_size: 0
    .sgpr_count:     43
    .sgpr_spill_count: 0
    .symbol:         bluestein_single_back_len935_dim1_half_op_CI_CI.kd
    .uniform_work_group_size: 1
    .uses_dynamic_stack: false
    .vgpr_count:     270
    .vgpr_spill_count: 0
    .wavefront_size: 64
amdhsa.target:   amdgcn-amd-amdhsa--gfx950
amdhsa.version:
  - 1
  - 2
...

	.end_amdgpu_metadata
